;; amdgpu-corpus repo=ROCm/rocFFT kind=compiled arch=gfx1201 opt=O3
	.text
	.amdgcn_target "amdgcn-amd-amdhsa--gfx1201"
	.amdhsa_code_object_version 6
	.protected	fft_rtc_fwd_len2016_factors_2_2_2_2_2_3_3_7_wgs_224_tpt_112_halfLds_half_op_CI_CI_unitstride_sbrr_R2C_dirReg ; -- Begin function fft_rtc_fwd_len2016_factors_2_2_2_2_2_3_3_7_wgs_224_tpt_112_halfLds_half_op_CI_CI_unitstride_sbrr_R2C_dirReg
	.globl	fft_rtc_fwd_len2016_factors_2_2_2_2_2_3_3_7_wgs_224_tpt_112_halfLds_half_op_CI_CI_unitstride_sbrr_R2C_dirReg
	.p2align	8
	.type	fft_rtc_fwd_len2016_factors_2_2_2_2_2_3_3_7_wgs_224_tpt_112_halfLds_half_op_CI_CI_unitstride_sbrr_R2C_dirReg,@function
fft_rtc_fwd_len2016_factors_2_2_2_2_2_3_3_7_wgs_224_tpt_112_halfLds_half_op_CI_CI_unitstride_sbrr_R2C_dirReg: ; @fft_rtc_fwd_len2016_factors_2_2_2_2_2_3_3_7_wgs_224_tpt_112_halfLds_half_op_CI_CI_unitstride_sbrr_R2C_dirReg
; %bb.0:
	s_clause 0x2
	s_load_b128 s[8:11], s[0:1], 0x0
	s_load_b128 s[4:7], s[0:1], 0x58
	;; [unrolled: 1-line block ×3, first 2 shown]
	v_mul_u32_u24_e32 v1, 0x24a, v0
	v_dual_mov_b32 v3, 0 :: v_dual_mov_b32 v22, 0
	v_mov_b32_e32 v23, 0
	s_delay_alu instid0(VALU_DEP_3) | instskip(NEXT) | instid1(VALU_DEP_3)
	v_lshrrev_b32_e32 v9, 16, v1
	v_mov_b32_e32 v6, v3
	s_delay_alu instid0(VALU_DEP_2) | instskip(SKIP_2) | instid1(VALU_DEP_1)
	v_lshl_add_u32 v5, ttmp9, 1, v9
	s_wait_kmcnt 0x0
	v_cmp_lt_u64_e64 s2, s[10:11], 2
	s_and_b32 vcc_lo, exec_lo, s2
	s_cbranch_vccnz .LBB0_8
; %bb.1:
	s_load_b64 s[2:3], s[0:1], 0x10
	v_mov_b32_e32 v22, 0
	v_mov_b32_e32 v23, 0
	s_delay_alu instid0(VALU_DEP_2)
	v_mov_b32_e32 v1, v22
	s_add_nc_u64 s[16:17], s[14:15], 8
	s_add_nc_u64 s[18:19], s[12:13], 8
	s_mov_b64 s[20:21], 1
	v_mov_b32_e32 v2, v23
	s_wait_kmcnt 0x0
	s_add_nc_u64 s[22:23], s[2:3], 8
	s_mov_b32 s3, 0
.LBB0_2:                                ; =>This Inner Loop Header: Depth=1
	s_load_b64 s[24:25], s[22:23], 0x0
                                        ; implicit-def: $vgpr7_vgpr8
	s_mov_b32 s2, exec_lo
	s_wait_kmcnt 0x0
	v_or_b32_e32 v4, s25, v6
	s_delay_alu instid0(VALU_DEP_1)
	v_cmpx_ne_u64_e32 0, v[3:4]
	s_wait_alu 0xfffe
	s_xor_b32 s26, exec_lo, s2
	s_cbranch_execz .LBB0_4
; %bb.3:                                ;   in Loop: Header=BB0_2 Depth=1
	s_cvt_f32_u32 s2, s24
	s_cvt_f32_u32 s27, s25
	s_sub_nc_u64 s[30:31], 0, s[24:25]
	s_wait_alu 0xfffe
	s_delay_alu instid0(SALU_CYCLE_1) | instskip(SKIP_1) | instid1(SALU_CYCLE_2)
	s_fmamk_f32 s2, s27, 0x4f800000, s2
	s_wait_alu 0xfffe
	v_s_rcp_f32 s2, s2
	s_delay_alu instid0(TRANS32_DEP_1) | instskip(SKIP_1) | instid1(SALU_CYCLE_2)
	s_mul_f32 s2, s2, 0x5f7ffffc
	s_wait_alu 0xfffe
	s_mul_f32 s27, s2, 0x2f800000
	s_wait_alu 0xfffe
	s_delay_alu instid0(SALU_CYCLE_2) | instskip(SKIP_1) | instid1(SALU_CYCLE_2)
	s_trunc_f32 s27, s27
	s_wait_alu 0xfffe
	s_fmamk_f32 s2, s27, 0xcf800000, s2
	s_cvt_u32_f32 s29, s27
	s_wait_alu 0xfffe
	s_delay_alu instid0(SALU_CYCLE_1) | instskip(SKIP_1) | instid1(SALU_CYCLE_2)
	s_cvt_u32_f32 s28, s2
	s_wait_alu 0xfffe
	s_mul_u64 s[34:35], s[30:31], s[28:29]
	s_wait_alu 0xfffe
	s_mul_hi_u32 s37, s28, s35
	s_mul_i32 s36, s28, s35
	s_mul_hi_u32 s2, s28, s34
	s_mul_i32 s33, s29, s34
	s_wait_alu 0xfffe
	s_add_nc_u64 s[36:37], s[2:3], s[36:37]
	s_mul_hi_u32 s27, s29, s34
	s_mul_hi_u32 s38, s29, s35
	s_add_co_u32 s2, s36, s33
	s_wait_alu 0xfffe
	s_add_co_ci_u32 s2, s37, s27
	s_mul_i32 s34, s29, s35
	s_add_co_ci_u32 s35, s38, 0
	s_wait_alu 0xfffe
	s_add_nc_u64 s[34:35], s[2:3], s[34:35]
	s_wait_alu 0xfffe
	v_add_co_u32 v4, s2, s28, s34
	s_delay_alu instid0(VALU_DEP_1) | instskip(SKIP_1) | instid1(VALU_DEP_1)
	s_cmp_lg_u32 s2, 0
	s_add_co_ci_u32 s29, s29, s35
	v_readfirstlane_b32 s28, v4
	s_wait_alu 0xfffe
	s_delay_alu instid0(VALU_DEP_1)
	s_mul_u64 s[30:31], s[30:31], s[28:29]
	s_wait_alu 0xfffe
	s_mul_hi_u32 s35, s28, s31
	s_mul_i32 s34, s28, s31
	s_mul_hi_u32 s2, s28, s30
	s_mul_i32 s33, s29, s30
	s_wait_alu 0xfffe
	s_add_nc_u64 s[34:35], s[2:3], s[34:35]
	s_mul_hi_u32 s27, s29, s30
	s_mul_hi_u32 s28, s29, s31
	s_wait_alu 0xfffe
	s_add_co_u32 s2, s34, s33
	s_add_co_ci_u32 s2, s35, s27
	s_mul_i32 s30, s29, s31
	s_add_co_ci_u32 s31, s28, 0
	s_wait_alu 0xfffe
	s_add_nc_u64 s[30:31], s[2:3], s[30:31]
	s_wait_alu 0xfffe
	v_add_co_u32 v4, s2, v4, s30
	s_delay_alu instid0(VALU_DEP_1) | instskip(SKIP_1) | instid1(VALU_DEP_1)
	s_cmp_lg_u32 s2, 0
	s_add_co_ci_u32 s2, s29, s31
	v_mul_hi_u32 v14, v5, v4
	s_wait_alu 0xfffe
	v_mad_co_u64_u32 v[7:8], null, v5, s2, 0
	v_mad_co_u64_u32 v[10:11], null, v6, v4, 0
	;; [unrolled: 1-line block ×3, first 2 shown]
	s_delay_alu instid0(VALU_DEP_3) | instskip(SKIP_1) | instid1(VALU_DEP_4)
	v_add_co_u32 v4, vcc_lo, v14, v7
	s_wait_alu 0xfffd
	v_add_co_ci_u32_e32 v7, vcc_lo, 0, v8, vcc_lo
	s_delay_alu instid0(VALU_DEP_2) | instskip(SKIP_1) | instid1(VALU_DEP_2)
	v_add_co_u32 v4, vcc_lo, v4, v10
	s_wait_alu 0xfffd
	v_add_co_ci_u32_e32 v4, vcc_lo, v7, v11, vcc_lo
	s_wait_alu 0xfffd
	v_add_co_ci_u32_e32 v7, vcc_lo, 0, v13, vcc_lo
	s_delay_alu instid0(VALU_DEP_2) | instskip(SKIP_1) | instid1(VALU_DEP_2)
	v_add_co_u32 v4, vcc_lo, v4, v12
	s_wait_alu 0xfffd
	v_add_co_ci_u32_e32 v10, vcc_lo, 0, v7, vcc_lo
	s_delay_alu instid0(VALU_DEP_2) | instskip(SKIP_1) | instid1(VALU_DEP_3)
	v_mul_lo_u32 v11, s25, v4
	v_mad_co_u64_u32 v[7:8], null, s24, v4, 0
	v_mul_lo_u32 v12, s24, v10
	s_delay_alu instid0(VALU_DEP_2) | instskip(NEXT) | instid1(VALU_DEP_2)
	v_sub_co_u32 v7, vcc_lo, v5, v7
	v_add3_u32 v8, v8, v12, v11
	s_delay_alu instid0(VALU_DEP_1) | instskip(SKIP_1) | instid1(VALU_DEP_1)
	v_sub_nc_u32_e32 v11, v6, v8
	s_wait_alu 0xfffd
	v_subrev_co_ci_u32_e64 v11, s2, s25, v11, vcc_lo
	v_add_co_u32 v12, s2, v4, 2
	s_wait_alu 0xf1ff
	v_add_co_ci_u32_e64 v13, s2, 0, v10, s2
	v_sub_co_u32 v14, s2, v7, s24
	v_sub_co_ci_u32_e32 v8, vcc_lo, v6, v8, vcc_lo
	s_wait_alu 0xf1ff
	v_subrev_co_ci_u32_e64 v11, s2, 0, v11, s2
	s_delay_alu instid0(VALU_DEP_3) | instskip(NEXT) | instid1(VALU_DEP_3)
	v_cmp_le_u32_e32 vcc_lo, s24, v14
	v_cmp_eq_u32_e64 s2, s25, v8
	s_wait_alu 0xfffd
	v_cndmask_b32_e64 v14, 0, -1, vcc_lo
	v_cmp_le_u32_e32 vcc_lo, s25, v11
	s_wait_alu 0xfffd
	v_cndmask_b32_e64 v15, 0, -1, vcc_lo
	v_cmp_le_u32_e32 vcc_lo, s24, v7
	;; [unrolled: 3-line block ×3, first 2 shown]
	s_wait_alu 0xfffd
	v_cndmask_b32_e64 v16, 0, -1, vcc_lo
	v_cmp_eq_u32_e32 vcc_lo, s25, v11
	s_wait_alu 0xf1ff
	s_delay_alu instid0(VALU_DEP_2)
	v_cndmask_b32_e64 v7, v16, v7, s2
	s_wait_alu 0xfffd
	v_cndmask_b32_e32 v11, v15, v14, vcc_lo
	v_add_co_u32 v14, vcc_lo, v4, 1
	s_wait_alu 0xfffd
	v_add_co_ci_u32_e32 v15, vcc_lo, 0, v10, vcc_lo
	s_delay_alu instid0(VALU_DEP_3) | instskip(SKIP_1) | instid1(VALU_DEP_2)
	v_cmp_ne_u32_e32 vcc_lo, 0, v11
	s_wait_alu 0xfffd
	v_dual_cndmask_b32 v8, v15, v13 :: v_dual_cndmask_b32 v11, v14, v12
	v_cmp_ne_u32_e32 vcc_lo, 0, v7
	s_wait_alu 0xfffd
	s_delay_alu instid0(VALU_DEP_2)
	v_dual_cndmask_b32 v8, v10, v8 :: v_dual_cndmask_b32 v7, v4, v11
.LBB0_4:                                ;   in Loop: Header=BB0_2 Depth=1
	s_wait_alu 0xfffe
	s_and_not1_saveexec_b32 s2, s26
	s_cbranch_execz .LBB0_6
; %bb.5:                                ;   in Loop: Header=BB0_2 Depth=1
	v_cvt_f32_u32_e32 v4, s24
	s_sub_co_i32 s26, 0, s24
	s_delay_alu instid0(VALU_DEP_1) | instskip(NEXT) | instid1(TRANS32_DEP_1)
	v_rcp_iflag_f32_e32 v4, v4
	v_mul_f32_e32 v4, 0x4f7ffffe, v4
	s_delay_alu instid0(VALU_DEP_1) | instskip(SKIP_1) | instid1(VALU_DEP_1)
	v_cvt_u32_f32_e32 v4, v4
	s_wait_alu 0xfffe
	v_mul_lo_u32 v7, s26, v4
	s_delay_alu instid0(VALU_DEP_1) | instskip(NEXT) | instid1(VALU_DEP_1)
	v_mul_hi_u32 v7, v4, v7
	v_add_nc_u32_e32 v4, v4, v7
	s_delay_alu instid0(VALU_DEP_1) | instskip(NEXT) | instid1(VALU_DEP_1)
	v_mul_hi_u32 v4, v5, v4
	v_mul_lo_u32 v7, v4, s24
	v_add_nc_u32_e32 v8, 1, v4
	s_delay_alu instid0(VALU_DEP_2) | instskip(NEXT) | instid1(VALU_DEP_1)
	v_sub_nc_u32_e32 v7, v5, v7
	v_subrev_nc_u32_e32 v10, s24, v7
	v_cmp_le_u32_e32 vcc_lo, s24, v7
	s_wait_alu 0xfffd
	s_delay_alu instid0(VALU_DEP_2) | instskip(NEXT) | instid1(VALU_DEP_1)
	v_dual_cndmask_b32 v7, v7, v10 :: v_dual_cndmask_b32 v4, v4, v8
	v_cmp_le_u32_e32 vcc_lo, s24, v7
	s_delay_alu instid0(VALU_DEP_2) | instskip(SKIP_1) | instid1(VALU_DEP_1)
	v_add_nc_u32_e32 v8, 1, v4
	s_wait_alu 0xfffd
	v_dual_cndmask_b32 v7, v4, v8 :: v_dual_mov_b32 v8, v3
.LBB0_6:                                ;   in Loop: Header=BB0_2 Depth=1
	s_wait_alu 0xfffe
	s_or_b32 exec_lo, exec_lo, s2
	s_delay_alu instid0(VALU_DEP_1) | instskip(NEXT) | instid1(VALU_DEP_2)
	v_mul_lo_u32 v4, v8, s24
	v_mul_lo_u32 v12, v7, s25
	s_load_b64 s[26:27], s[18:19], 0x0
	v_mad_co_u64_u32 v[10:11], null, v7, s24, 0
	s_load_b64 s[24:25], s[16:17], 0x0
	s_add_nc_u64 s[20:21], s[20:21], 1
	s_add_nc_u64 s[16:17], s[16:17], 8
	s_wait_alu 0xfffe
	v_cmp_ge_u64_e64 s2, s[20:21], s[10:11]
	s_add_nc_u64 s[18:19], s[18:19], 8
	s_add_nc_u64 s[22:23], s[22:23], 8
	v_add3_u32 v4, v11, v12, v4
	v_sub_co_u32 v5, vcc_lo, v5, v10
	s_wait_alu 0xfffd
	s_delay_alu instid0(VALU_DEP_2) | instskip(SKIP_2) | instid1(VALU_DEP_1)
	v_sub_co_ci_u32_e32 v4, vcc_lo, v6, v4, vcc_lo
	s_and_b32 vcc_lo, exec_lo, s2
	s_wait_kmcnt 0x0
	v_mul_lo_u32 v6, s26, v4
	v_mul_lo_u32 v10, s27, v5
	v_mad_co_u64_u32 v[22:23], null, s26, v5, v[22:23]
	v_mul_lo_u32 v4, s24, v4
	v_mul_lo_u32 v11, s25, v5
	v_mad_co_u64_u32 v[1:2], null, s24, v5, v[1:2]
	s_delay_alu instid0(VALU_DEP_4) | instskip(NEXT) | instid1(VALU_DEP_2)
	v_add3_u32 v23, v10, v23, v6
	v_add3_u32 v2, v11, v2, v4
	s_wait_alu 0xfffe
	s_cbranch_vccnz .LBB0_9
; %bb.7:                                ;   in Loop: Header=BB0_2 Depth=1
	v_dual_mov_b32 v5, v7 :: v_dual_mov_b32 v6, v8
	s_branch .LBB0_2
.LBB0_8:
	v_dual_mov_b32 v1, v22 :: v_dual_mov_b32 v2, v23
	v_dual_mov_b32 v8, v6 :: v_dual_mov_b32 v7, v5
.LBB0_9:
	s_load_b64 s[0:1], s[0:1], 0x28
	v_and_b32_e32 v3, 1, v9
	v_mul_hi_u32 v4, 0x2492493, v0
	s_lshl_b64 s[10:11], s[10:11], 3
                                        ; implicit-def: $vgpr5
                                        ; implicit-def: $vgpr21
                                        ; implicit-def: $vgpr19
                                        ; implicit-def: $vgpr17
                                        ; implicit-def: $vgpr15
                                        ; implicit-def: $vgpr13
                                        ; implicit-def: $vgpr11
                                        ; implicit-def: $vgpr9
	s_wait_kmcnt 0x0
	v_cmp_gt_u64_e32 vcc_lo, s[0:1], v[7:8]
	v_cmp_le_u64_e64 s1, s[0:1], v[7:8]
	v_cmp_eq_u32_e64 s0, 1, v3
                                        ; implicit-def: $vgpr3
	s_delay_alu instid0(VALU_DEP_2)
	s_and_saveexec_b32 s2, s1
	s_wait_alu 0xfffe
	s_xor_b32 s1, exec_lo, s2
; %bb.10:
	v_mul_u32_u24_e32 v3, 0x70, v4
                                        ; implicit-def: $vgpr4
                                        ; implicit-def: $vgpr22_vgpr23
	s_delay_alu instid0(VALU_DEP_1) | instskip(NEXT) | instid1(VALU_DEP_1)
	v_sub_nc_u32_e32 v3, v0, v3
                                        ; implicit-def: $vgpr0
	v_add_nc_u32_e32 v5, 0x70, v3
	v_add_nc_u32_e32 v21, 0xe0, v3
	;; [unrolled: 1-line block ×7, first 2 shown]
	v_or_b32_e32 v9, 0x380, v3
; %bb.11:
	s_wait_alu 0xfffe
	s_or_saveexec_b32 s1, s1
	v_cndmask_b32_e64 v6, 0, 0x7e1, s0
	s_add_nc_u64 s[2:3], s[14:15], s[10:11]
	s_delay_alu instid0(VALU_DEP_1)
	v_lshlrev_b32_e32 v24, 2, v6
	s_wait_alu 0xfffe
	s_xor_b32 exec_lo, exec_lo, s1
	s_cbranch_execz .LBB0_13
; %bb.12:
	s_add_nc_u64 s[10:11], s[12:13], s[10:11]
	s_load_b64 s[10:11], s[10:11], 0x0
	s_wait_kmcnt 0x0
	v_mul_lo_u32 v3, s11, v7
	v_mul_lo_u32 v9, s10, v8
	v_mad_co_u64_u32 v[5:6], null, s10, v7, 0
	s_delay_alu instid0(VALU_DEP_1) | instskip(SKIP_2) | instid1(VALU_DEP_3)
	v_add3_u32 v6, v6, v9, v3
	v_mul_u32_u24_e32 v3, 0x70, v4
	v_lshlrev_b64_e32 v[9:10], 2, v[22:23]
	v_lshlrev_b64_e32 v[4:5], 2, v[5:6]
	s_delay_alu instid0(VALU_DEP_3) | instskip(NEXT) | instid1(VALU_DEP_1)
	v_sub_nc_u32_e32 v3, v0, v3
	v_lshlrev_b32_e32 v6, 2, v3
	s_delay_alu instid0(VALU_DEP_3) | instskip(SKIP_1) | instid1(VALU_DEP_4)
	v_add_co_u32 v0, s0, s4, v4
	s_wait_alu 0xf1ff
	v_add_co_ci_u32_e64 v4, s0, s5, v5, s0
	v_add_nc_u32_e32 v21, 0xe0, v3
	s_delay_alu instid0(VALU_DEP_3) | instskip(SKIP_1) | instid1(VALU_DEP_3)
	v_add_co_u32 v0, s0, v0, v9
	s_wait_alu 0xf1ff
	v_add_co_ci_u32_e64 v5, s0, v4, v10, s0
	v_add_nc_u32_e32 v19, 0x150, v3
	s_delay_alu instid0(VALU_DEP_3) | instskip(SKIP_1) | instid1(VALU_DEP_3)
	v_add_co_u32 v4, s0, v0, v6
	s_wait_alu 0xf1ff
	v_add_co_ci_u32_e64 v5, s0, 0, v5, s0
	s_clause 0x11
	global_load_b32 v0, v[4:5], off
	global_load_b32 v10, v[4:5], off offset:448
	global_load_b32 v12, v[4:5], off offset:896
	;; [unrolled: 1-line block ×17, first 2 shown]
	v_add3_u32 v6, 0, v24, v6
	v_add_nc_u32_e32 v5, 0x70, v3
	v_add_nc_u32_e32 v17, 0x1c0, v3
	;; [unrolled: 1-line block ×5, first 2 shown]
	v_or_b32_e32 v9, 0x380, v3
	v_add_nc_u32_e32 v33, 0x200, v6
	v_add_nc_u32_e32 v34, 0x600, v6
	;; [unrolled: 1-line block ×8, first 2 shown]
	s_wait_loadcnt 0x10
	ds_store_2addr_b32 v6, v0, v10 offset1:112
	s_wait_loadcnt 0xe
	ds_store_2addr_b32 v33, v12, v14 offset0:96 offset1:208
	s_wait_loadcnt 0xc
	ds_store_2addr_b32 v34, v16, v18 offset0:64 offset1:176
	;; [unrolled: 2-line block ×7, first 2 shown]
	s_wait_loadcnt 0x0
	ds_store_2addr_b32 v40, v32, v4 offset1:112
.LBB0_13:
	s_or_b32 exec_lo, exec_lo, s1
	v_lshlrev_b32_e32 v4, 2, v3
	v_add_nc_u32_e32 v0, 0, v24
	s_load_b64 s[2:3], s[2:3], 0x0
	global_wb scope:SCOPE_SE
	s_wait_dscnt 0x0
	s_wait_kmcnt 0x0
	s_barrier_signal -1
	v_add3_u32 v6, 0, v4, v24
	v_add_nc_u32_e32 v10, v0, v4
	s_barrier_wait -1
	global_inv scope:SCOPE_SE
	v_lshl_add_u32 v42, v5, 3, v0
	v_add_nc_u32_e32 v12, 0xc00, v6
	v_add_nc_u32_e32 v20, 0x400, v6
	;; [unrolled: 1-line block ×7, first 2 shown]
	ds_load_2addr_b32 v[22:23], v12 offset0:16 offset1:128
	ds_load_b32 v41, v6 offset:7616
	ds_load_2addr_b32 v[27:28], v14 offset0:16 offset1:128
	ds_load_2addr_b32 v[29:30], v16 offset0:48 offset1:160
	;; [unrolled: 1-line block ×7, first 2 shown]
	ds_load_b32 v44, v10
	v_add_nc_u32_e32 v51, v6, v4
	v_lshl_add_u32 v43, v21, 3, v0
	v_lshl_add_u32 v45, v19, 3, v0
	v_lshl_add_u32 v46, v17, 3, v0
	v_lshl_add_u32 v47, v15, 3, v0
	global_wb scope:SCOPE_SE
	s_wait_dscnt 0x0
	s_barrier_signal -1
	s_barrier_wait -1
	global_inv scope:SCOPE_SE
	v_lshl_add_u32 v48, v13, 3, v0
	v_lshl_add_u32 v49, v11, 3, v0
	;; [unrolled: 1-line block ×3, first 2 shown]
	v_lshlrev_b32_e32 v52, 2, v9
	v_and_b32_e32 v53, 3, v3
	v_cmp_gt_u32_e64 s0, 0x60, v3
	v_pk_add_f16 v41, v23, v41 neg_lo:[0,1] neg_hi:[0,1]
	v_pk_add_f16 v36, v33, v36 neg_lo:[0,1] neg_hi:[0,1]
	;; [unrolled: 1-line block ×8, first 2 shown]
	v_pk_fma_f16 v37, v37, 2.0, v40 op_sel_hi:[1,0,1] neg_lo:[0,0,1] neg_hi:[0,0,1]
	v_pk_fma_f16 v44, v44, 2.0, v39 op_sel_hi:[1,0,1] neg_lo:[0,0,1] neg_hi:[0,0,1]
	v_pk_add_f16 v28, v22, v28 neg_lo:[0,1] neg_hi:[0,1]
	v_pk_fma_f16 v38, v38, 2.0, v35 op_sel_hi:[1,0,1] neg_lo:[0,0,1] neg_hi:[0,0,1]
	v_pk_fma_f16 v33, v33, 2.0, v36 op_sel_hi:[1,0,1] neg_lo:[0,0,1] neg_hi:[0,0,1]
	v_pk_fma_f16 v34, v34, 2.0, v31 op_sel_hi:[1,0,1] neg_lo:[0,0,1] neg_hi:[0,0,1]
	v_pk_fma_f16 v29, v29, 2.0, v32 op_sel_hi:[1,0,1] neg_lo:[0,0,1] neg_hi:[0,0,1]
	ds_store_2addr_b32 v51, v44, v39 offset1:1
	ds_store_2addr_b32 v42, v37, v40 offset1:1
	;; [unrolled: 1-line block ×5, first 2 shown]
	v_and_b32_e32 v31, 1, v3
	v_pk_fma_f16 v30, v30, 2.0, v27 op_sel_hi:[1,0,1] neg_lo:[0,0,1] neg_hi:[0,0,1]
	v_pk_fma_f16 v22, v22, 2.0, v28 op_sel_hi:[1,0,1] neg_lo:[0,0,1] neg_hi:[0,0,1]
	;; [unrolled: 1-line block ×3, first 2 shown]
	ds_store_2addr_b32 v47, v29, v32 offset1:1
	ds_store_2addr_b32 v48, v30, v27 offset1:1
	;; [unrolled: 1-line block ×4, first 2 shown]
	v_lshlrev_b32_e32 v22, 2, v31
	global_wb scope:SCOPE_SE
	s_wait_dscnt 0x0
	s_barrier_signal -1
	s_barrier_wait -1
	global_inv scope:SCOPE_SE
	global_load_b32 v51, v22, s[8:9]
	v_lshlrev_b32_e32 v27, 2, v21
	v_lshlrev_b32_e32 v28, 2, v19
	;; [unrolled: 1-line block ×15, first 2 shown]
	v_sub_nc_u32_e32 v37, v43, v27
	v_sub_nc_u32_e32 v30, v45, v28
	;; [unrolled: 1-line block ×3, first 2 shown]
	v_lshl_add_u32 v36, v5, 2, v0
	v_and_or_b32 v54, 0xfc, v22, v31
	v_and_or_b32 v55, 0x1fc, v23, v31
	;; [unrolled: 1-line block ×9, first 2 shown]
	v_sub_nc_u32_e32 v27, v47, v32
	v_sub_nc_u32_e32 v29, v48, v42
	;; [unrolled: 1-line block ×4, first 2 shown]
	ds_load_b32 v50, v10
	ds_load_2addr_b32 v[42:43], v18 offset0:48 offset1:160
	ds_load_b32 v52, v37
	ds_load_b32 v64, v30
	;; [unrolled: 1-line block ×6, first 2 shown]
	ds_load_b32 v69, v6 offset:7616
	ds_load_2addr_b32 v[44:45], v14 offset0:16 offset1:128
	ds_load_2addr_b32 v[46:47], v25 offset0:80 offset1:192
	;; [unrolled: 1-line block ×3, first 2 shown]
	ds_load_b32 v70, v31
	ds_load_b32 v71, v32
	v_lshlrev_b32_e32 v63, 2, v53
	v_lshl_add_u32 v54, v54, 2, v0
	v_lshl_add_u32 v55, v55, 2, v0
	;; [unrolled: 1-line block ×9, first 2 shown]
	global_wb scope:SCOPE_SE
	s_wait_loadcnt_dscnt 0x0
	s_barrier_signal -1
	s_barrier_wait -1
	global_inv scope:SCOPE_SE
	v_pk_mul_f16 v72, v51, v43 op_sel:[0,1]
	v_pk_mul_f16 v73, v69, v51 op_sel:[0,1]
	;; [unrolled: 1-line block ×9, first 2 shown]
	v_pk_fma_f16 v81, v51, v43, v72 op_sel:[0,0,1] op_sel_hi:[1,1,0] neg_lo:[0,0,1] neg_hi:[0,0,1]
	v_pk_fma_f16 v43, v51, v43, v72 op_sel:[0,0,1] op_sel_hi:[1,0,0]
	v_pk_fma_f16 v72, v69, v51, v73 op_sel:[0,0,1] op_sel_hi:[1,1,0] neg_lo:[0,0,1] neg_hi:[0,0,1]
	v_pk_fma_f16 v69, v69, v51, v73 op_sel:[0,0,1] op_sel_hi:[1,0,0]
	;; [unrolled: 2-line block ×9, first 2 shown]
	v_bfi_b32 v46, 0xffff, v77, v46
	v_bfi_b32 v47, 0xffff, v76, v47
	;; [unrolled: 1-line block ×9, first 2 shown]
	v_pk_add_f16 v48, v50, v48 neg_lo:[0,1] neg_hi:[0,1]
	v_pk_add_f16 v49, v68, v49 neg_lo:[0,1] neg_hi:[0,1]
	;; [unrolled: 1-line block ×9, first 2 shown]
	v_pk_fma_f16 v50, v50, 2.0, v48 op_sel_hi:[1,0,1] neg_lo:[0,0,1] neg_hi:[0,0,1]
	v_pk_fma_f16 v68, v68, 2.0, v49 op_sel_hi:[1,0,1] neg_lo:[0,0,1] neg_hi:[0,0,1]
	;; [unrolled: 1-line block ×9, first 2 shown]
	ds_store_2addr_b32 v54, v50, v48 offset1:2
	ds_store_2addr_b32 v55, v68, v49 offset1:2
	;; [unrolled: 1-line block ×9, first 2 shown]
	global_wb scope:SCOPE_SE
	s_wait_dscnt 0x0
	s_barrier_signal -1
	s_barrier_wait -1
	global_inv scope:SCOPE_SE
	global_load_b32 v50, v63, s[8:9] offset:8
	v_and_or_b32 v44, 0xf8, v22, v53
	v_and_or_b32 v46, 0x1f8, v23, v53
	;; [unrolled: 1-line block ×3, first 2 shown]
	ds_load_b32 v59, v10
	ds_load_b32 v60, v37
	;; [unrolled: 1-line block ×6, first 2 shown]
	ds_load_2addr_b32 v[42:43], v14 offset0:16 offset1:128
	ds_load_b32 v65, v36
	ds_load_b32 v66, v6 offset:7616
	v_and_b32_e32 v51, 7, v3
	v_lshl_add_u32 v67, v44, 2, v0
	ds_load_2addr_b32 v[44:45], v18 offset0:48 offset1:160
	v_lshl_add_u32 v68, v46, 2, v0
	ds_load_2addr_b32 v[46:47], v25 offset0:80 offset1:192
	;; [unrolled: 2-line block ×3, first 2 shown]
	ds_load_b32 v70, v31
	ds_load_b32 v71, v32
	v_and_or_b32 v52, 0x3f8, v34, v53
	v_and_or_b32 v54, 0x7f8, v35, v53
	;; [unrolled: 1-line block ×6, first 2 shown]
	v_lshlrev_b32_e32 v58, 2, v51
	v_lshl_add_u32 v52, v52, 2, v0
	v_lshl_add_u32 v54, v54, 2, v0
	;; [unrolled: 1-line block ×6, first 2 shown]
	global_wb scope:SCOPE_SE
	s_wait_loadcnt_dscnt 0x0
	s_barrier_signal -1
	s_barrier_wait -1
	global_inv scope:SCOPE_SE
	v_pk_mul_f16 v72, v50, v42 op_sel:[0,1]
	v_pk_mul_f16 v73, v66, v50 op_sel:[0,1]
	;; [unrolled: 1-line block ×9, first 2 shown]
	v_pk_fma_f16 v81, v50, v42, v72 op_sel:[0,0,1] op_sel_hi:[1,1,0] neg_lo:[0,0,1] neg_hi:[0,0,1]
	v_pk_fma_f16 v42, v50, v42, v72 op_sel:[0,0,1] op_sel_hi:[1,0,0]
	v_pk_fma_f16 v72, v66, v50, v73 op_sel:[0,0,1] op_sel_hi:[1,1,0] neg_lo:[0,0,1] neg_hi:[0,0,1]
	v_pk_fma_f16 v66, v66, v50, v73 op_sel:[0,0,1] op_sel_hi:[1,0,0]
	;; [unrolled: 2-line block ×9, first 2 shown]
	v_bfi_b32 v46, 0xffff, v77, v46
	v_bfi_b32 v47, 0xffff, v76, v47
	;; [unrolled: 1-line block ×9, first 2 shown]
	v_pk_add_f16 v48, v59, v48 neg_lo:[0,1] neg_hi:[0,1]
	v_pk_add_f16 v49, v65, v49 neg_lo:[0,1] neg_hi:[0,1]
	;; [unrolled: 1-line block ×9, first 2 shown]
	v_pk_fma_f16 v59, v59, 2.0, v48 op_sel_hi:[1,0,1] neg_lo:[0,0,1] neg_hi:[0,0,1]
	v_pk_fma_f16 v65, v65, 2.0, v49 op_sel_hi:[1,0,1] neg_lo:[0,0,1] neg_hi:[0,0,1]
	;; [unrolled: 1-line block ×9, first 2 shown]
	ds_store_2addr_b32 v67, v59, v48 offset1:4
	ds_store_2addr_b32 v68, v65, v49 offset1:4
	;; [unrolled: 1-line block ×9, first 2 shown]
	global_wb scope:SCOPE_SE
	s_wait_dscnt 0x0
	s_barrier_signal -1
	s_barrier_wait -1
	global_inv scope:SCOPE_SE
	global_load_b32 v50, v58, s[8:9] offset:24
	v_and_or_b32 v44, 0xf0, v22, v51
	v_and_or_b32 v46, 0x1f0, v23, v51
	;; [unrolled: 1-line block ×3, first 2 shown]
	ds_load_b32 v59, v10
	ds_load_b32 v60, v37
	;; [unrolled: 1-line block ×6, first 2 shown]
	ds_load_2addr_b32 v[42:43], v14 offset0:16 offset1:128
	ds_load_b32 v65, v36
	ds_load_b32 v66, v6 offset:7616
	v_and_b32_e32 v52, 15, v3
	v_lshl_add_u32 v67, v44, 2, v0
	ds_load_2addr_b32 v[44:45], v18 offset0:48 offset1:160
	v_lshl_add_u32 v68, v46, 2, v0
	ds_load_2addr_b32 v[46:47], v25 offset0:80 offset1:192
	;; [unrolled: 2-line block ×3, first 2 shown]
	ds_load_b32 v70, v31
	ds_load_b32 v71, v32
	v_and_or_b32 v53, 0x3f0, v34, v51
	v_and_or_b32 v54, 0x7f0, v35, v51
	;; [unrolled: 1-line block ×6, first 2 shown]
	v_lshlrev_b32_e32 v58, 2, v52
	v_lshl_add_u32 v53, v53, 2, v0
	v_lshl_add_u32 v54, v54, 2, v0
	;; [unrolled: 1-line block ×6, first 2 shown]
	global_wb scope:SCOPE_SE
	s_wait_loadcnt_dscnt 0x0
	s_barrier_signal -1
	s_barrier_wait -1
	global_inv scope:SCOPE_SE
	v_and_or_b32 v35, 0x7e0, v35, v52
	s_delay_alu instid0(VALU_DEP_1)
	v_lshl_add_u32 v35, v35, 2, v0
	v_pk_mul_f16 v72, v50, v42 op_sel:[0,1]
	v_pk_mul_f16 v73, v66, v50 op_sel:[0,1]
	;; [unrolled: 1-line block ×9, first 2 shown]
	v_pk_fma_f16 v81, v50, v42, v72 op_sel:[0,0,1] op_sel_hi:[1,1,0] neg_lo:[0,0,1] neg_hi:[0,0,1]
	v_pk_fma_f16 v42, v50, v42, v72 op_sel:[0,0,1] op_sel_hi:[1,0,0]
	v_pk_fma_f16 v72, v66, v50, v73 op_sel:[0,0,1] op_sel_hi:[1,1,0] neg_lo:[0,0,1] neg_hi:[0,0,1]
	v_pk_fma_f16 v66, v66, v50, v73 op_sel:[0,0,1] op_sel_hi:[1,0,0]
	;; [unrolled: 2-line block ×9, first 2 shown]
	v_bfi_b32 v46, 0xffff, v77, v46
	v_bfi_b32 v47, 0xffff, v76, v47
	;; [unrolled: 1-line block ×9, first 2 shown]
	v_pk_add_f16 v48, v59, v48 neg_lo:[0,1] neg_hi:[0,1]
	v_pk_add_f16 v49, v65, v49 neg_lo:[0,1] neg_hi:[0,1]
	;; [unrolled: 1-line block ×9, first 2 shown]
	v_pk_fma_f16 v59, v59, 2.0, v48 op_sel_hi:[1,0,1] neg_lo:[0,0,1] neg_hi:[0,0,1]
	v_pk_fma_f16 v65, v65, 2.0, v49 op_sel_hi:[1,0,1] neg_lo:[0,0,1] neg_hi:[0,0,1]
	;; [unrolled: 1-line block ×9, first 2 shown]
	ds_store_2addr_b32 v67, v59, v48 offset1:8
	ds_store_2addr_b32 v68, v65, v49 offset1:8
	;; [unrolled: 1-line block ×9, first 2 shown]
	global_wb scope:SCOPE_SE
	s_wait_dscnt 0x0
	s_barrier_signal -1
	s_barrier_wait -1
	global_inv scope:SCOPE_SE
	global_load_b32 v43, v58, s[8:9] offset:56
	v_and_or_b32 v44, 0xe0, v22, v52
	v_and_or_b32 v46, 0x1e0, v23, v52
	;; [unrolled: 1-line block ×8, first 2 shown]
	ds_load_b32 v54, v10
	ds_load_b32 v55, v37
	;; [unrolled: 1-line block ×6, first 2 shown]
	ds_load_2addr_b32 v[22:23], v14 offset0:16 offset1:128
	ds_load_b32 v60, v36
	ds_load_b32 v61, v6 offset:7616
	ds_load_2addr_b32 v[33:34], v18 offset0:48 offset1:160
	ds_load_2addr_b32 v[38:39], v25 offset0:80 offset1:192
	;; [unrolled: 1-line block ×3, first 2 shown]
	ds_load_b32 v62, v31
	ds_load_b32 v63, v32
	v_and_b32_e32 v45, 31, v5
	v_lshl_add_u32 v44, v44, 2, v0
	v_lshl_add_u32 v46, v46, 2, v0
	;; [unrolled: 1-line block ×4, first 2 shown]
	v_lshlrev_b32_e32 v53, 3, v45
	v_and_b32_e32 v42, 31, v3
	v_lshl_add_u32 v49, v49, 2, v0
	v_lshl_add_u32 v50, v50, 2, v0
	;; [unrolled: 1-line block ×4, first 2 shown]
	global_wb scope:SCOPE_SE
	s_wait_loadcnt_dscnt 0x0
	s_barrier_signal -1
	s_barrier_wait -1
	global_inv scope:SCOPE_SE
	v_pk_mul_f16 v64, v43, v22 op_sel:[0,1]
	v_pk_mul_f16 v65, v61, v43 op_sel:[0,1]
	v_pk_mul_f16 v66, v23, v43 op_sel:[0,1]
	v_pk_mul_f16 v67, v43, v34 op_sel:[0,1]
	v_pk_mul_f16 v68, v43, v33 op_sel:[0,1]
	v_pk_mul_f16 v69, v43, v39 op_sel:[0,1]
	v_pk_mul_f16 v70, v43, v38 op_sel:[0,1]
	v_pk_mul_f16 v71, v43, v41 op_sel:[0,1]
	v_pk_mul_f16 v72, v43, v40 op_sel:[0,1]
	v_pk_fma_f16 v73, v43, v22, v64 op_sel:[0,0,1] op_sel_hi:[1,1,0] neg_lo:[0,0,1] neg_hi:[0,0,1]
	v_pk_fma_f16 v22, v43, v22, v64 op_sel:[0,0,1] op_sel_hi:[1,0,0]
	v_pk_fma_f16 v64, v61, v43, v65 op_sel:[0,0,1] op_sel_hi:[1,1,0] neg_lo:[0,0,1] neg_hi:[0,0,1]
	v_pk_fma_f16 v61, v61, v43, v65 op_sel:[0,0,1] op_sel_hi:[1,0,0]
	;; [unrolled: 2-line block ×9, first 2 shown]
	v_bfi_b32 v38, 0xffff, v69, v38
	v_bfi_b32 v39, 0xffff, v68, v39
	;; [unrolled: 1-line block ×9, first 2 shown]
	v_pk_add_f16 v40, v54, v40 neg_lo:[0,1] neg_hi:[0,1]
	v_pk_add_f16 v41, v60, v41 neg_lo:[0,1] neg_hi:[0,1]
	;; [unrolled: 1-line block ×9, first 2 shown]
	v_pk_fma_f16 v54, v54, 2.0, v40 op_sel_hi:[1,0,1] neg_lo:[0,0,1] neg_hi:[0,0,1]
	v_pk_fma_f16 v60, v60, 2.0, v41 op_sel_hi:[1,0,1] neg_lo:[0,0,1] neg_hi:[0,0,1]
	;; [unrolled: 1-line block ×9, first 2 shown]
	ds_store_2addr_b32 v44, v54, v40 offset1:16
	ds_store_2addr_b32 v46, v60, v41 offset1:16
	;; [unrolled: 1-line block ×9, first 2 shown]
	global_wb scope:SCOPE_SE
	s_wait_dscnt 0x0
	s_barrier_signal -1
	s_barrier_wait -1
	global_inv scope:SCOPE_SE
	global_load_b64 v[33:34], v53, s[8:9] offset:120
	v_and_b32_e32 v35, 31, v19
	v_lshlrev_b32_e32 v22, 3, v42
	v_and_b32_e32 v53, 31, v15
	v_add_nc_u32_e32 v51, 0xffffffa0, v3
	v_lshrrev_b32_e32 v46, 5, v5
	v_lshlrev_b32_e32 v23, 3, v35
	s_clause 0x1
	global_load_b64 v[38:39], v22, s[8:9] offset:120
	global_load_b64 v[40:41], v23, s[8:9] offset:120
	v_dual_mov_b32 v23, 0 :: v_dual_lshlrev_b32 v22, 3, v53
	v_lshrrev_b32_e32 v47, 5, v21
	s_wait_alu 0xf1ff
	v_cndmask_b32_e64 v59, v51, v3, s0
	v_mul_lo_u32 v46, 0x60, v46
	v_lshrrev_b32_e32 v48, 5, v19
	global_load_b64 v[43:44], v22, s[8:9] offset:120
	v_lshrrev_b32_e32 v22, 5, v3
	v_mul_lo_u32 v47, 0x60, v47
	v_lshrrev_b32_e32 v49, 5, v17
	v_lshrrev_b32_e32 v50, 5, v15
	v_and_b32_e32 v52, 0xff, v5
	v_mul_u32_u24_e32 v58, 0x60, v22
	v_lshlrev_b32_e32 v22, 1, v59
	v_mul_lo_u32 v60, 0x60, v48
	v_mul_lo_u32 v61, 0x60, v49
	;; [unrolled: 1-line block ×3, first 2 shown]
	v_mul_lo_u16 v63, 0xab, v52
	v_or_b32_e32 v65, v46, v45
	v_or_b32_e32 v66, v47, v42
	v_lshlrev_b64_e32 v[45:46], 2, v[22:23]
	ds_load_2addr_b32 v[47:48], v18 offset0:48 offset1:160
	ds_load_2addr_b32 v[49:50], v26 offset0:112 offset1:224
	;; [unrolled: 1-line block ×3, first 2 shown]
	ds_load_b32 v22, v31
	v_or_b32_e32 v58, v58, v42
	v_or_b32_e32 v42, v61, v42
	ds_load_b32 v61, v29
	v_and_b32_e32 v54, 0xffff, v21
	v_or_b32_e32 v35, v60, v35
	v_or_b32_e32 v60, v62, v53
	v_lshrrev_b16 v63, 14, v63
	v_and_b32_e32 v55, 0xffff, v19
	v_mul_u32_u24_e32 v64, 0xaaab, v54
	ds_load_b32 v62, v10
	ds_load_2addr_b32 v[53:54], v25 offset0:80 offset1:192
	ds_load_b32 v67, v32
	ds_load_u16 v68, v32 offset:2
	ds_load_b32 v69, v37
	ds_load_b32 v70, v30
	;; [unrolled: 1-line block ×4, first 2 shown]
	v_and_b32_e32 v56, 0xffff, v17
	v_and_b32_e32 v57, 0xffff, v15
	v_mul_u32_u24_e32 v55, 0xaaab, v55
	v_lshrrev_b32_e32 v64, 22, v64
	v_lshl_add_u32 v58, v58, 2, v0
	v_mul_u32_u24_e32 v56, 0xaaab, v56
	s_wait_dscnt 0xc
	v_lshrrev_b32_e32 v83, 16, v47
	s_wait_dscnt 0xb
	v_lshrrev_b32_e32 v74, 16, v49
	s_wait_dscnt 0xa
	v_lshrrev_b32_e32 v75, 16, v51
	s_wait_dscnt 0x9
	v_lshrrev_b32_e32 v76, 16, v22
	v_lshrrev_b32_e32 v79, 16, v52
	v_lshrrev_b32_e32 v73, 16, v48
	s_wait_dscnt 0x8
	v_lshrrev_b32_e32 v80, 16, v61
	v_lshrrev_b32_e32 v78, 16, v50
	;; [unrolled: 1-line block ×3, first 2 shown]
	v_mul_u32_u24_e32 v57, 0xaaab, v57
	v_lshl_add_u32 v65, v65, 2, v0
	v_lshl_add_u32 v66, v66, 2, v0
	v_lshrrev_b32_e32 v56, 22, v56
	v_lshl_add_u32 v35, v35, 2, v0
	v_lshl_add_u32 v42, v42, 2, v0
	v_lshl_add_u32 v60, v60, 2, v0
	v_add_co_u32 v45, s0, s8, v45
	s_wait_alu 0xf1ff
	v_add_co_ci_u32_e64 v46, s0, s9, v46, s0
	v_cmp_lt_u32_e64 s0, 0x5f, v3
	s_wait_loadcnt 0x3
	v_lshrrev_b32_e32 v77, 16, v33
	v_lshrrev_b32_e32 v81, 16, v34
	s_delay_alu instid0(VALU_DEP_2) | instskip(SKIP_1) | instid1(VALU_DEP_3)
	v_mul_f16_e32 v82, v77, v76
	v_mul_f16_e32 v77, v77, v22
	;; [unrolled: 1-line block ×4, first 2 shown]
	s_wait_loadcnt 0x2
	v_lshrrev_b32_e32 v84, 16, v39
	v_fma_f16 v22, v33, v22, -v82
	s_wait_loadcnt 0x1
	v_lshrrev_b32_e32 v82, 16, v40
	v_fmac_f16_e32 v77, v33, v76
	v_fmac_f16_e32 v85, v34, v83
	v_lshrrev_b32_e32 v76, 16, v41
	v_fma_f16 v34, v34, v47, -v81
	v_mul_f16_e32 v81, v49, v82
	v_mul_f16_e32 v82, v74, v82
	v_lshrrev_b32_e32 v47, 16, v38
	v_mul_f16_e32 v83, v51, v76
	v_mul_f16_e32 v76, v75, v76
	v_fmac_f16_e32 v81, v74, v40
	v_fma_f16 v40, v49, v40, -v82
	v_mul_f16_e32 v49, v79, v84
	v_mul_f16_e32 v74, v47, v80
	v_fmac_f16_e32 v83, v75, v41
	v_fma_f16 v41, v51, v41, -v76
	v_mul_f16_e32 v51, v47, v61
	v_mul_f16_e32 v76, v52, v84
	v_fma_f16 v49, v52, v39, -v49
	ds_load_b32 v52, v36
	ds_load_b32 v82, v6 offset:7616
	v_mul_f16_e32 v33, v73, v84
	v_mul_f16_e32 v75, v78, v47
	v_fma_f16 v61, v38, v61, -v74
	s_wait_dscnt 0x8
	v_lshrrev_b32_e32 v74, 16, v54
	v_fmac_f16_e32 v51, v38, v80
	v_mul_f16_e32 v80, v84, v54
	v_fma_f16 v33, v48, v39, -v33
	v_mul_f16_e32 v48, v48, v84
	v_fma_f16 v75, v50, v38, -v75
	v_mul_f16_e32 v50, v50, v47
	v_mul_f16_e32 v84, v84, v74
	v_fmac_f16_e32 v80, v39, v74
	s_wait_dscnt 0x6
	v_mul_f16_e32 v74, v68, v47
	v_mul_f16_e32 v47, v47, v67
	v_fmac_f16_e32 v48, v73, v39
	v_fmac_f16_e32 v50, v78, v38
	;; [unrolled: 1-line block ×3, first 2 shown]
	v_fma_f16 v67, v38, v67, -v74
	v_lshrrev_b32_e32 v74, 16, v53
	v_fmac_f16_e32 v47, v68, v38
	s_wait_loadcnt 0x0
	v_lshrrev_b32_e32 v68, 16, v43
	s_wait_dscnt 0x0
	v_lshrrev_b32_e32 v73, 16, v82
	v_lshrrev_b32_e32 v38, 16, v44
	v_fma_f16 v39, v39, v54, -v84
	v_lshrrev_b32_e32 v54, 16, v62
	v_mul_f16_e32 v78, v74, v68
	v_mul_f16_e32 v68, v53, v68
	v_lshrrev_b32_e32 v79, 16, v52
	v_lshrrev_b32_e32 v84, 16, v69
	global_wb scope:SCOPE_SE
	v_fma_f16 v53, v53, v43, -v78
	v_mul_f16_e32 v78, v73, v38
	v_mul_f16_e32 v38, v82, v38
	v_fmac_f16_e32 v68, v74, v43
	v_lshrrev_b32_e32 v43, 16, v70
	s_barrier_signal -1
	v_fma_f16 v74, v82, v44, -v78
	v_fmac_f16_e32 v38, v73, v44
	v_add_f16_e32 v44, v62, v61
	v_add_f16_e32 v78, v61, v39
	;; [unrolled: 1-line block ×3, first 2 shown]
	v_sub_f16_e32 v61, v61, v39
	v_lshrrev_b32_e32 v73, 16, v71
	v_add_f16_e32 v39, v44, v39
	v_sub_f16_e32 v44, v51, v80
	v_add_f16_e32 v51, v51, v80
	v_fmac_f16_e32 v62, -0.5, v78
	v_add_f16_e32 v78, v52, v22
	v_add_f16_e32 v80, v82, v80
	v_add_f16_e32 v82, v22, v34
	v_fmac_f16_e32 v54, -0.5, v51
	v_add_f16_e32 v51, v79, v77
	v_sub_f16_e32 v22, v22, v34
	v_add_f16_e32 v34, v78, v34
	v_sub_f16_e32 v78, v77, v85
	v_add_f16_e32 v77, v77, v85
	v_fmac_f16_e32 v52, -0.5, v82
	v_add_f16_e32 v82, v69, v67
	v_add_f16_e32 v51, v51, v85
	v_add_f16_e32 v85, v67, v33
	v_fmac_f16_e32 v79, -0.5, v77
	v_add_f16_e32 v77, v84, v47
	v_sub_f16_e32 v67, v67, v33
	;; [unrolled: 10-line block ×4, first 2 shown]
	v_add_f16_e32 v49, v77, v49
	v_add_f16_e32 v77, v50, v76
	v_fmac_f16_e32 v71, -0.5, v83
	v_lshrrev_b32_e32 v83, 16, v72
	v_sub_f16_e32 v50, v50, v76
	v_add_f16_e32 v76, v81, v76
	v_add_f16_e32 v81, v72, v53
	v_fmac_f16_e32 v73, -0.5, v77
	v_add_f16_e32 v77, v53, v74
	v_sub_f16_e32 v53, v53, v74
	v_pack_b32_f16 v39, v39, v80
	v_add_f16_e32 v74, v81, v74
	v_add_f16_e32 v81, v83, v68
	v_fmac_f16_e32 v72, -0.5, v77
	v_add_f16_e32 v77, v68, v38
	v_sub_f16_e32 v68, v68, v38
	v_pack_b32_f16 v34, v34, v51
	v_add_f16_e32 v38, v81, v38
	v_mul_lo_u16 v81, 0x60, v63
	v_fmac_f16_e32 v83, -0.5, v77
	v_fmamk_f16 v77, v44, 0x3aee, v62
	v_fmac_f16_e32 v62, 0xbaee, v44
	v_fmamk_f16 v44, v61, 0xbaee, v54
	v_sub_nc_u16 v81, v5, v81
	v_fmac_f16_e32 v54, 0x3aee, v61
	v_fmamk_f16 v61, v78, 0x3aee, v52
	v_fmac_f16_e32 v52, 0xbaee, v78
	v_fmamk_f16 v78, v22, 0xbaee, v79
	;; [unrolled: 2-line block ×10, first 2 shown]
	v_fmac_f16_e32 v83, 0x3aee, v53
	v_mul_lo_u16 v53, 0x60, v64
	v_and_b32_e32 v81, 0xff, v81
	v_pack_b32_f16 v44, v77, v44
	v_pack_b32_f16 v33, v33, v48
	;; [unrolled: 1-line block ×3, first 2 shown]
	v_sub_nc_u16 v53, v21, v53
	v_lshlrev_b32_e32 v51, 3, v81
	v_pack_b32_f16 v41, v41, v47
	v_pack_b32_f16 v47, v49, v76
	;; [unrolled: 1-line block ×5, first 2 shown]
	v_mul_lo_u16 v80, 0x60, v55
	s_barrier_wait -1
	global_inv scope:SCOPE_SE
	v_pack_b32_f16 v38, v74, v38
	v_pack_b32_f16 v54, v69, v84
	;; [unrolled: 1-line block ×8, first 2 shown]
	ds_store_2addr_b32 v58, v39, v44 offset1:32
	ds_store_b32 v58, v48 offset:256
	ds_store_2addr_b32 v65, v34, v49 offset1:32
	ds_store_b32 v65, v52 offset:256
	;; [unrolled: 2-line block ×6, first 2 shown]
	global_wb scope:SCOPE_SE
	s_wait_dscnt 0x0
	s_barrier_signal -1
	s_barrier_wait -1
	global_inv scope:SCOPE_SE
	s_clause 0x1
	global_load_b64 v[33:34], v51, s[8:9] offset:376
	global_load_b64 v[42:43], v[45:46], off offset:376
	v_and_b32_e32 v22, 0xffff, v53
	v_lshrrev_b32_e32 v35, 22, v57
	v_sub_nc_u16 v38, v19, v80
	v_mul_lo_u16 v39, 0x60, v56
	v_lshlrev_b32_e32 v52, 2, v59
	v_lshlrev_b32_e32 v40, 3, v22
	v_mul_lo_u16 v41, 0x60, v35
	v_and_b32_e32 v38, 0xffff, v38
	v_sub_nc_u16 v39, v17, v39
	v_lshlrev_b32_e32 v53, 2, v81
	global_load_b64 v[44:45], v40, s[8:9] offset:376
	v_sub_nc_u16 v40, v15, v41
	v_lshlrev_b32_e32 v41, 3, v38
	v_and_b32_e32 v39, 0xffff, v39
	v_lshlrev_b32_e32 v22, 2, v22
	v_mad_u32_u24 v59, 0x480, v55, 0
	v_and_b32_e32 v40, 0xffff, v40
	global_load_b64 v[46:47], v41, s[8:9] offset:376
	v_lshlrev_b32_e32 v41, 3, v39
	v_lshlrev_b32_e32 v60, 2, v38
	v_mad_u32_u24 v56, 0x480, v56, 0
	v_lshlrev_b32_e32 v50, 3, v40
	s_clause 0x1
	global_load_b64 v[48:49], v41, s[8:9] offset:376
	global_load_b64 v[50:51], v50, s[8:9] offset:376
	s_wait_alu 0xf1ff
	v_cndmask_b32_e64 v41, 0, 0x480, s0
	v_lshlrev_b32_e32 v61, 2, v40
	v_mad_u32_u24 v35, 0x480, v35, 0
	v_lshlrev_b32_e32 v39, 2, v39
	v_add_nc_u32_e32 v57, 0x1000, v6
	v_add_nc_u32_e32 v41, 0, v41
	v_cmp_gt_u32_e64 s0, 64, v3
	s_delay_alu instid0(VALU_DEP_4) | instskip(NEXT) | instid1(VALU_DEP_3)
	v_add3_u32 v56, v56, v39, v24
	v_add3_u32 v58, v41, v52, v24
	v_and_b32_e32 v41, 0xffff, v63
	v_mad_u32_u24 v52, 0x480, v64, 0
	s_delay_alu instid0(VALU_DEP_2) | instskip(NEXT) | instid1(VALU_DEP_2)
	v_mad_u32_u24 v41, 0x480, v41, 0
	v_add3_u32 v22, v52, v22, v24
	s_delay_alu instid0(VALU_DEP_2)
	v_add3_u32 v62, v41, v53, v24
	ds_load_b32 v63, v10
	ds_load_b32 v64, v36
	;; [unrolled: 1-line block ×5, first 2 shown]
	ds_load_2addr_b32 v[31:32], v18 offset0:48 offset1:160
	ds_load_b32 v30, v30
	ds_load_2addr_b32 v[52:53], v26 offset0:112 offset1:224
	ds_load_2addr_b32 v[54:55], v14 offset0:16 offset1:128
	ds_load_b32 v38, v28
	ds_load_b32 v29, v29
	;; [unrolled: 1-line block ×3, first 2 shown]
	ds_load_2addr_b32 v[25:26], v25 offset0:80 offset1:192
	ds_load_b32 v27, v6 offset:7616
	v_add3_u32 v28, v59, v60, v24
	v_add3_u32 v24, v35, v61, v24
	global_wb scope:SCOPE_SE
	s_wait_loadcnt_dscnt 0x0
	s_barrier_signal -1
	s_barrier_wait -1
	global_inv scope:SCOPE_SE
	v_lshrrev_b32_e32 v35, 16, v63
	v_lshrrev_b32_e32 v59, 16, v64
	;; [unrolled: 1-line block ×22, first 2 shown]
	s_delay_alu instid0(VALU_DEP_4) | instskip(SKIP_3) | instid1(VALU_DEP_4)
	v_mul_f16_e32 v82, v77, v76
	v_mul_f16_e32 v77, v77, v66
	;; [unrolled: 1-line block ×4, first 2 shown]
	v_fma_f16 v66, v33, v66, -v82
	s_delay_alu instid0(VALU_DEP_4) | instskip(SKIP_4) | instid1(VALU_DEP_4)
	v_fmac_f16_e32 v77, v33, v76
	v_lshrrev_b32_e32 v82, 16, v45
	v_lshrrev_b32_e32 v33, 16, v44
	v_fma_f16 v31, v34, v31, -v81
	v_fmac_f16_e32 v85, v34, v80
	v_mul_f16_e32 v76, v68, v82
	v_mul_f16_e32 v81, v32, v82
	;; [unrolled: 1-line block ×3, first 2 shown]
	v_lshrrev_b32_e32 v34, 16, v46
	v_mul_f16_e32 v33, v67, v33
	v_fma_f16 v32, v32, v45, -v76
	v_fmac_f16_e32 v81, v68, v45
	v_mul_f16_e32 v45, v83, v78
	v_lshrrev_b32_e32 v76, 16, v47
	v_lshrrev_b32_e32 v82, 16, v48
	v_fma_f16 v67, v67, v44, -v80
	v_lshrrev_b32_e32 v80, 16, v49
	v_mul_f16_e32 v68, v83, v29
	v_mul_f16_e32 v83, v84, v79
	;; [unrolled: 1-line block ×3, first 2 shown]
	v_fmac_f16_e32 v33, v61, v44
	v_lshrrev_b32_e32 v44, 16, v50
	v_lshrrev_b32_e32 v61, 16, v51
	v_fma_f16 v29, v42, v29, -v45
	v_mul_f16_e32 v45, v70, v34
	v_mul_f16_e32 v34, v52, v34
	v_fmac_f16_e32 v68, v42, v78
	v_mul_f16_e32 v42, v71, v76
	v_mul_f16_e32 v76, v54, v76
	v_fmac_f16_e32 v84, v43, v79
	v_mul_f16_e32 v78, v72, v82
	v_mul_f16_e32 v79, v53, v82
	v_fma_f16 v26, v43, v26, -v83
	v_mul_f16_e32 v43, v73, v80
	v_mul_f16_e32 v80, v55, v80
	;; [unrolled: 1-line block ×4, first 2 shown]
	v_fmac_f16_e32 v34, v70, v46
	v_mul_f16_e32 v70, v75, v61
	v_mul_f16_e32 v61, v27, v61
	v_fma_f16 v45, v52, v46, -v45
	v_fma_f16 v42, v54, v47, -v42
	v_fmac_f16_e32 v76, v71, v47
	v_fma_f16 v46, v53, v48, -v78
	v_fmac_f16_e32 v79, v72, v48
	;; [unrolled: 2-line block ×3, first 2 shown]
	v_add_f16_e32 v47, v63, v29
	v_add_f16_e32 v48, v29, v26
	v_fma_f16 v25, v25, v50, -v82
	v_fmac_f16_e32 v44, v74, v50
	v_fma_f16 v27, v27, v51, -v70
	v_fmac_f16_e32 v61, v75, v51
	v_add_f16_e32 v50, v35, v68
	v_add_f16_e32 v51, v68, v84
	v_add_f16_e32 v52, v64, v66
	v_add_f16_e32 v53, v66, v31
	v_sub_f16_e32 v49, v68, v84
	v_add_f16_e32 v68, v77, v85
	v_sub_f16_e32 v29, v29, v26
	v_sub_f16_e32 v54, v77, v85
	v_add_f16_e32 v55, v59, v77
	v_add_f16_e32 v71, v67, v32
	v_sub_f16_e32 v72, v33, v81
	v_add_f16_e32 v73, v60, v33
	v_add_f16_e32 v33, v33, v81
	v_add_f16_e32 v75, v45, v42
	v_sub_f16_e32 v77, v34, v76
	v_add_f16_e32 v78, v69, v34
	v_add_f16_e32 v34, v34, v76
	;; [unrolled: 1-line block ×4, first 2 shown]
	v_sub_f16_e32 v47, v79, v80
	v_fmac_f16_e32 v63, -0.5, v48
	v_add_f16_e32 v48, v39, v79
	v_add_f16_e32 v79, v79, v80
	v_sub_f16_e32 v66, v66, v31
	v_add_f16_e32 v74, v30, v45
	v_add_f16_e32 v50, v50, v84
	;; [unrolled: 1-line block ×3, first 2 shown]
	v_fmac_f16_e32 v35, -0.5, v51
	v_add_f16_e32 v51, v25, v27
	v_add_f16_e32 v31, v52, v31
	v_sub_f16_e32 v52, v44, v61
	v_fmac_f16_e32 v64, -0.5, v53
	v_add_f16_e32 v53, v41, v44
	v_add_f16_e32 v44, v44, v61
	v_fmac_f16_e32 v59, -0.5, v68
	v_add_f16_e32 v70, v65, v67
	v_sub_f16_e32 v67, v67, v32
	v_sub_f16_e32 v45, v45, v42
	v_add_f16_e32 v82, v38, v46
	v_sub_f16_e32 v46, v46, v43
	v_fmac_f16_e32 v65, -0.5, v71
	v_fmac_f16_e32 v60, -0.5, v33
	;; [unrolled: 1-line block ×6, first 2 shown]
	v_sub_f16_e32 v25, v25, v27
	v_add_f16_e32 v33, v74, v42
	v_add_f16_e32 v42, v84, v27
	v_fmac_f16_e32 v40, -0.5, v51
	v_fmac_f16_e32 v41, -0.5, v44
	v_fmamk_f16 v27, v49, 0x3aee, v63
	v_fmac_f16_e32 v63, 0xbaee, v49
	v_fmamk_f16 v49, v29, 0xbaee, v35
	v_fmac_f16_e32 v35, 0x3aee, v29
	v_add_f16_e32 v55, v55, v85
	v_fmamk_f16 v29, v54, 0x3aee, v64
	v_fmamk_f16 v51, v66, 0xbaee, v59
	v_fmac_f16_e32 v64, 0xbaee, v54
	v_fmac_f16_e32 v59, 0x3aee, v66
	v_add_f16_e32 v32, v70, v32
	v_add_f16_e32 v68, v73, v81
	;; [unrolled: 1-line block ×6, first 2 shown]
	v_fmamk_f16 v53, v72, 0x3aee, v65
	v_fmamk_f16 v54, v67, 0xbaee, v60
	v_fmac_f16_e32 v60, 0x3aee, v67
	v_fmamk_f16 v61, v77, 0x3aee, v30
	v_fmac_f16_e32 v30, 0xbaee, v77
	;; [unrolled: 2-line block ×5, first 2 shown]
	v_fmac_f16_e32 v39, 0x3aee, v46
	v_fmamk_f16 v44, v52, 0x3aee, v40
	v_fmac_f16_e32 v40, 0xbaee, v52
	v_fmamk_f16 v45, v25, 0xbaee, v41
	v_fmac_f16_e32 v41, 0x3aee, v25
	v_pack_b32_f16 v25, v26, v50
	v_pack_b32_f16 v27, v27, v49
	;; [unrolled: 1-line block ×18, first 2 shown]
	ds_store_2addr_b32 v58, v25, v27 offset1:96
	ds_store_b32 v58, v35 offset:768
	ds_store_2addr_b32 v62, v26, v29 offset1:96
	ds_store_b32 v62, v46 offset:768
	ds_store_2addr_b32 v22, v31, v48 offset1:96
	ds_store_b32 v22, v49 offset:768
	ds_store_2addr_b32 v28, v32, v50 offset1:96
	ds_store_b32 v28, v30 offset:768
	ds_store_2addr_b32 v56, v33, v47 offset1:96
	ds_store_b32 v56, v51 offset:768
	ds_store_2addr_b32 v24, v34, v52 offset1:96
	ds_store_b32 v24, v53 offset:768
	global_wb scope:SCOPE_SE
	s_wait_dscnt 0x0
	s_barrier_signal -1
	s_barrier_wait -1
	global_inv scope:SCOPE_SE
	ds_load_2addr_b32 v[34:35], v20 offset0:32 offset1:144
	ds_load_2addr_b32 v[32:33], v16 offset0:64 offset1:176
	;; [unrolled: 1-line block ×6, first 2 shown]
	ds_load_b32 v48, v10
	ds_load_b32 v47, v36
                                        ; implicit-def: $vgpr14
                                        ; implicit-def: $vgpr12
                                        ; implicit-def: $vgpr46
                                        ; implicit-def: $vgpr20
                                        ; implicit-def: $vgpr18
                                        ; implicit-def: $vgpr16
	s_and_saveexec_b32 s1, s0
	s_cbranch_execz .LBB0_15
; %bb.14:
	ds_load_b32 v38, v37
	ds_load_b32 v42, v6 offset:2048
	ds_load_b32 v44, v6 offset:3200
	;; [unrolled: 1-line block ×6, first 2 shown]
	s_wait_dscnt 0x6
	v_lshrrev_b32_e32 v39, 16, v38
	s_wait_dscnt 0x5
	v_lshrrev_b32_e32 v43, 16, v42
	;; [unrolled: 2-line block ×7, first 2 shown]
.LBB0_15:
	s_wait_alu 0xfffe
	s_or_b32 exec_lo, exec_lo, s1
	v_mul_u32_u24_e32 v22, 6, v3
	s_wait_dscnt 0x2
	v_lshrrev_b32_e32 v66, 16, v24
	v_lshrrev_b32_e32 v67, 16, v26
	;; [unrolled: 1-line block ×4, first 2 shown]
	v_lshlrev_b32_e32 v37, 2, v22
	v_mul_i32_i24_e32 v22, 6, v5
	v_lshrrev_b32_e32 v70, 16, v32
	v_lshrrev_b32_e32 v71, 16, v34
	;; [unrolled: 1-line block ×3, first 2 shown]
	s_clause 0x1
	global_load_b128 v[49:52], v37, s[8:9] offset:1144
	global_load_b64 v[57:58], v37, s[8:9] offset:1160
	v_lshlrev_b64_e32 v[22:23], 2, v[22:23]
	v_lshrrev_b32_e32 v63, 16, v25
	v_lshrrev_b32_e32 v64, 16, v33
	;; [unrolled: 1-line block ×5, first 2 shown]
	v_add_co_u32 v22, s1, s8, v22
	s_wait_alu 0xf1ff
	v_add_co_ci_u32_e64 v23, s1, s9, v23, s1
	s_wait_dscnt 0x1
	v_lshrrev_b32_e32 v37, 16, v48
	s_wait_dscnt 0x0
	v_lshrrev_b32_e32 v59, 16, v47
	s_clause 0x1
	global_load_b128 v[53:56], v[22:23], off offset:1144
	global_load_b64 v[22:23], v[22:23], off offset:1160
	global_wb scope:SCOPE_SE
	s_wait_loadcnt 0x0
	s_barrier_signal -1
	s_barrier_wait -1
	global_inv scope:SCOPE_SE
	v_lshrrev_b32_e32 v72, 16, v49
	v_lshrrev_b32_e32 v73, 16, v50
	;; [unrolled: 1-line block ×6, first 2 shown]
	v_mul_f16_e32 v78, v72, v71
	v_mul_f16_e32 v72, v72, v34
	;; [unrolled: 1-line block ×12, first 2 shown]
	v_lshrrev_b32_e32 v84, 16, v53
	v_lshrrev_b32_e32 v85, 16, v54
	;; [unrolled: 1-line block ×6, first 2 shown]
	v_fma_f16 v34, v49, v34, -v78
	v_fmac_f16_e32 v72, v49, v71
	v_fma_f16 v32, v50, v32, -v79
	v_fmac_f16_e32 v73, v50, v70
	;; [unrolled: 2-line block ×6, first 2 shown]
	v_mul_f16_e32 v49, v84, v65
	v_mul_f16_e32 v50, v84, v35
	;; [unrolled: 1-line block ×12, first 2 shown]
	v_add_f16_e32 v78, v34, v24
	v_add_f16_e32 v79, v72, v77
	v_sub_f16_e32 v24, v34, v24
	v_sub_f16_e32 v34, v72, v77
	v_add_f16_e32 v72, v32, v26
	v_add_f16_e32 v77, v73, v76
	v_sub_f16_e32 v26, v32, v26
	v_sub_f16_e32 v32, v73, v76
	v_add_f16_e32 v73, v30, v28
	v_add_f16_e32 v76, v74, v75
	v_sub_f16_e32 v28, v28, v30
	v_sub_f16_e32 v30, v75, v74
	v_fma_f16 v35, v53, v35, -v49
	v_fmac_f16_e32 v50, v53, v65
	v_fma_f16 v33, v54, v33, -v51
	v_fmac_f16_e32 v52, v54, v64
	;; [unrolled: 2-line block ×6, first 2 shown]
	v_add_f16_e32 v23, v72, v78
	v_add_f16_e32 v25, v77, v79
	v_sub_f16_e32 v53, v78, v73
	v_sub_f16_e32 v54, v79, v76
	;; [unrolled: 1-line block ×4, first 2 shown]
	v_add_f16_e32 v57, v28, v26
	v_add_f16_e32 v60, v30, v32
	v_sub_f16_e32 v61, v28, v26
	v_sub_f16_e32 v62, v30, v32
	v_sub_f16_e32 v26, v26, v24
	v_sub_f16_e32 v32, v32, v34
	v_add_f16_e32 v63, v35, v22
	v_add_f16_e32 v64, v50, v71
	v_sub_f16_e32 v22, v35, v22
	v_sub_f16_e32 v35, v50, v71
	v_add_f16_e32 v50, v33, v27
	v_add_f16_e32 v65, v52, v69
	v_sub_f16_e32 v49, v72, v78
	v_sub_f16_e32 v51, v77, v79
	;; [unrolled: 1-line block ×6, first 2 shown]
	v_add_f16_e32 v52, v31, v29
	v_add_f16_e32 v66, v58, v67
	v_sub_f16_e32 v29, v29, v31
	v_sub_f16_e32 v31, v67, v58
	v_add_f16_e32 v23, v73, v23
	v_add_f16_e32 v25, v76, v25
	;; [unrolled: 1-line block ×4, first 2 shown]
	v_mul_f16_e32 v53, 0x3a52, v53
	v_mul_f16_e32 v54, 0x3a52, v54
	;; [unrolled: 1-line block ×8, first 2 shown]
	v_add_f16_e32 v68, v50, v63
	v_add_f16_e32 v69, v65, v64
	v_sub_f16_e32 v70, v50, v63
	v_sub_f16_e32 v71, v65, v64
	;; [unrolled: 1-line block ×6, first 2 shown]
	v_add_f16_e32 v72, v29, v27
	v_sub_f16_e32 v74, v29, v27
	v_sub_f16_e32 v75, v31, v33
	;; [unrolled: 1-line block ×3, first 2 shown]
	v_add_f16_e32 v48, v48, v23
	v_add_f16_e32 v37, v37, v25
	v_fmamk_f16 v55, v55, 0x2b26, v53
	v_fmamk_f16 v56, v56, 0x2b26, v54
	v_fma_f16 v57, v49, 0x39e0, -v57
	v_fma_f16 v58, v51, 0x39e0, -v58
	;; [unrolled: 1-line block ×4, first 2 shown]
	v_fmamk_f16 v53, v28, 0x3574, v60
	v_fmamk_f16 v54, v30, 0x3574, v61
	v_fma_f16 v26, v26, 0x3b00, -v60
	v_fma_f16 v32, v32, 0x3b00, -v61
	;; [unrolled: 1-line block ×4, first 2 shown]
	v_add_f16_e32 v52, v52, v68
	v_add_f16_e32 v60, v66, v69
	;; [unrolled: 1-line block ×3, first 2 shown]
	v_sub_f16_e32 v33, v33, v35
	v_sub_f16_e32 v29, v22, v29
	;; [unrolled: 1-line block ×3, first 2 shown]
	v_mul_f16_e32 v61, 0x3a52, v63
	v_mul_f16_e32 v62, 0x3a52, v64
	;; [unrolled: 1-line block ×7, first 2 shown]
	v_fmamk_f16 v23, v23, 0xbcab, v48
	v_fmamk_f16 v25, v25, 0xbcab, v37
	v_fmac_f16_e32 v53, 0x370e, v24
	v_fmac_f16_e32 v54, 0x370e, v34
	;; [unrolled: 1-line block ×6, first 2 shown]
	v_pack_b32_f16 v24, v48, v37
	v_add_f16_e32 v34, v47, v52
	v_add_f16_e32 v37, v59, v60
	v_mul_f16_e32 v69, 0x3b00, v33
	v_add_f16_e32 v22, v72, v22
	v_add_f16_e32 v35, v73, v35
	v_fmamk_f16 v47, v50, 0x2b26, v61
	v_fmamk_f16 v48, v65, 0x2b26, v62
	v_fma_f16 v50, v70, 0x39e0, -v63
	v_fma_f16 v59, v71, 0x39e0, -v64
	v_fmamk_f16 v63, v29, 0x3574, v66
	v_fmamk_f16 v64, v31, 0x3574, v67
	v_fma_f16 v27, v27, 0x3b00, -v66
	v_fma_f16 v29, v29, 0xb574, -v68
	v_add_f16_e32 v55, v55, v23
	v_add_f16_e32 v56, v56, v25
	;; [unrolled: 1-line block ×6, first 2 shown]
	v_fmamk_f16 v49, v52, 0xbcab, v34
	v_fmamk_f16 v51, v60, 0xbcab, v37
	v_fma_f16 v61, v70, 0xb9e0, -v61
	v_fma_f16 v62, v71, 0xb9e0, -v62
	;; [unrolled: 1-line block ×4, first 2 shown]
	v_fmac_f16_e32 v63, 0x370e, v22
	v_fmac_f16_e32 v64, 0x370e, v35
	;; [unrolled: 1-line block ×4, first 2 shown]
	v_pack_b32_f16 v22, v34, v37
	v_add_f16_e32 v37, v30, v23
	v_sub_f16_e32 v52, v25, v28
	v_sub_f16_e32 v23, v23, v30
	v_add_f16_e32 v25, v28, v25
	v_sub_f16_e32 v28, v55, v54
	v_add_f16_e32 v30, v53, v56
	v_add_f16_e32 v47, v47, v49
	;; [unrolled: 1-line block ×3, first 2 shown]
	v_fmac_f16_e32 v33, 0x370e, v35
	v_fmac_f16_e32 v31, 0x370e, v35
	v_add_f16_e32 v34, v54, v55
	v_sub_f16_e32 v35, v56, v53
	v_sub_f16_e32 v60, v57, v32
	v_add_f16_e32 v65, v26, v58
	v_add_f16_e32 v32, v32, v57
	v_sub_f16_e32 v26, v58, v26
	v_add_f16_e32 v50, v50, v49
	v_add_f16_e32 v53, v59, v51
	;; [unrolled: 1-line block ×4, first 2 shown]
	v_pack_b32_f16 v23, v23, v25
	v_pack_b32_f16 v25, v28, v30
	v_add_f16_e32 v28, v64, v47
	v_sub_f16_e32 v30, v48, v63
	v_pack_b32_f16 v34, v34, v35
	v_pack_b32_f16 v35, v37, v52
	;; [unrolled: 1-line block ×3, first 2 shown]
	v_add_f16_e32 v32, v31, v49
	v_sub_f16_e32 v52, v51, v29
	v_sub_f16_e32 v54, v50, v33
	v_add_f16_e32 v55, v27, v53
	v_pack_b32_f16 v37, v60, v65
	v_add_f16_e32 v33, v33, v50
	v_sub_f16_e32 v27, v53, v27
	v_sub_f16_e32 v31, v49, v31
	v_add_f16_e32 v29, v29, v51
	v_sub_f16_e32 v47, v47, v64
	v_add_f16_e32 v48, v63, v48
	ds_store_b32 v6, v24
	ds_store_b32 v6, v34 offset:1152
	ds_store_b32 v6, v35 offset:2304
	;; [unrolled: 1-line block ×6, first 2 shown]
	v_pack_b32_f16 v23, v28, v30
	v_pack_b32_f16 v24, v32, v52
	;; [unrolled: 1-line block ×6, first 2 shown]
	ds_store_b32 v36, v22
	ds_store_b32 v36, v23 offset:1152
	ds_store_b32 v36, v24 offset:2304
	ds_store_b32 v36, v25 offset:3456
	ds_store_b32 v36, v26 offset:4608
	ds_store_b32 v36, v27 offset:5760
	ds_store_b32 v36, v28 offset:6912
	s_and_saveexec_b32 s1, s0
	s_cbranch_execz .LBB0_17
; %bb.16:
	v_subrev_nc_u32_e32 v22, 64, v3
	v_mov_b32_e32 v23, 0
	s_delay_alu instid0(VALU_DEP_2) | instskip(NEXT) | instid1(VALU_DEP_1)
	v_cndmask_b32_e64 v22, v22, v21, s0
	v_mul_i32_i24_e32 v22, 6, v22
	s_delay_alu instid0(VALU_DEP_1) | instskip(NEXT) | instid1(VALU_DEP_1)
	v_lshlrev_b64_e32 v[22:23], 2, v[22:23]
	v_add_co_u32 v26, s0, s8, v22
	s_wait_alu 0xf1ff
	s_delay_alu instid0(VALU_DEP_2)
	v_add_co_ci_u32_e64 v27, s0, s9, v23, s0
	s_clause 0x1
	global_load_b128 v[22:25], v[26:27], off offset:1144
	global_load_b64 v[26:27], v[26:27], off offset:1160
	s_wait_loadcnt 0x1
	v_lshrrev_b32_e32 v28, 16, v22
	v_lshrrev_b32_e32 v29, 16, v23
	s_wait_loadcnt 0x0
	v_lshrrev_b32_e32 v30, 16, v27
	v_lshrrev_b32_e32 v31, 16, v25
	;; [unrolled: 1-line block ×4, first 2 shown]
	v_mul_f16_e32 v34, v43, v28
	v_mul_f16_e32 v35, v46, v30
	;; [unrolled: 1-line block ×12, first 2 shown]
	v_fma_f16 v34, v42, v22, -v34
	v_fma_f16 v20, v20, v27, -v35
	;; [unrolled: 1-line block ×5, first 2 shown]
	v_fmac_f16_e32 v30, v46, v27
	v_fmac_f16_e32 v28, v43, v22
	;; [unrolled: 1-line block ×4, first 2 shown]
	v_fma_f16 v35, v40, v24, -v47
	v_fmac_f16_e32 v32, v41, v24
	v_fmac_f16_e32 v31, v14, v25
	v_sub_f16_e32 v14, v34, v20
	v_sub_f16_e32 v22, v37, v16
	v_add_f16_e32 v23, v28, v30
	v_add_f16_e32 v25, v29, v33
	;; [unrolled: 1-line block ×4, first 2 shown]
	v_sub_f16_e32 v18, v12, v35
	v_add_f16_e32 v24, v32, v31
	v_add_f16_e32 v12, v35, v12
	v_sub_f16_e32 v26, v28, v30
	v_sub_f16_e32 v27, v31, v32
	v_sub_f16_e32 v28, v29, v33
	v_add_f16_e32 v33, v25, v23
	v_add_f16_e32 v37, v16, v20
	v_sub_f16_e32 v29, v14, v18
	v_sub_f16_e32 v30, v18, v22
	v_add_f16_e32 v18, v18, v22
	v_sub_f16_e32 v31, v23, v24
	v_sub_f16_e32 v32, v24, v25
	;; [unrolled: 1-line block ×6, first 2 shown]
	v_add_f16_e32 v27, v27, v28
	v_sub_f16_e32 v22, v22, v14
	v_sub_f16_e32 v16, v16, v20
	;; [unrolled: 1-line block ×3, first 2 shown]
	v_add_f16_e32 v24, v24, v33
	v_add_f16_e32 v12, v12, v37
	v_sub_f16_e32 v23, v25, v23
	v_mul_f16_e32 v25, 0xb846, v30
	v_add_f16_e32 v14, v18, v14
	v_mul_f16_e32 v18, 0x3a52, v31
	v_mul_f16_e32 v28, 0x2b26, v32
	;; [unrolled: 1-line block ×4, first 2 shown]
	v_add_f16_e32 v26, v27, v26
	v_mul_f16_e32 v27, 0x3b00, v22
	v_mul_f16_e32 v34, 0x3b00, v20
	v_add_f16_e32 v39, v39, v24
	v_add_f16_e32 v38, v38, v12
	v_mul_f16_e32 v31, 0x2b26, v35
	v_fmamk_f16 v37, v29, 0x3574, v25
	v_fmamk_f16 v32, v32, 0x2b26, v18
	v_fmamk_f16 v35, v35, 0x2b26, v30
	v_fmamk_f16 v41, v40, 0x3574, v33
	v_fma_f16 v27, v29, 0xb574, -v27
	v_fma_f16 v18, v23, 0xb9e0, -v18
	;; [unrolled: 1-line block ×7, first 2 shown]
	v_fmamk_f16 v24, v24, 0xbcab, v39
	v_fmamk_f16 v12, v12, 0xbcab, v38
	v_fma_f16 v16, v16, 0x39e0, -v31
	v_fmac_f16_e32 v37, 0x370e, v14
	v_fmac_f16_e32 v41, 0x370e, v26
	;; [unrolled: 1-line block ×5, first 2 shown]
	v_add_f16_e32 v25, v32, v24
	v_add_f16_e32 v26, v35, v12
	;; [unrolled: 1-line block ×3, first 2 shown]
	v_fmac_f16_e32 v27, 0x370e, v14
	v_add_f16_e32 v18, v18, v24
	v_add_f16_e32 v28, v29, v12
	;; [unrolled: 1-line block ×4, first 2 shown]
	v_sub_f16_e32 v31, v23, v22
	v_add_f16_e32 v22, v22, v23
	v_sub_f16_e32 v23, v25, v37
	v_add_f16_e32 v25, v41, v26
	;; [unrolled: 2-line block ×5, first 2 shown]
	v_pack_b32_f16 v14, v38, v39
	v_sub_f16_e32 v20, v28, v30
	v_pack_b32_f16 v23, v25, v23
	v_pack_b32_f16 v18, v26, v18
	;; [unrolled: 1-line block ×6, first 2 shown]
	ds_store_b32 v6, v14 offset:896
	ds_store_b32 v6, v23 offset:2048
	;; [unrolled: 1-line block ×7, first 2 shown]
.LBB0_17:
	s_wait_alu 0xfffe
	s_or_b32 exec_lo, exec_lo, s1
	global_wb scope:SCOPE_SE
	s_wait_dscnt 0x0
	s_barrier_signal -1
	s_barrier_wait -1
	global_inv scope:SCOPE_SE
	ds_load_b32 v6, v10
	v_sub_nc_u32_e32 v23, v0, v4
	s_mov_b32 s1, exec_lo
                                        ; implicit-def: $vgpr12
                                        ; implicit-def: $vgpr4
                                        ; implicit-def: $vgpr24
	v_cmpx_ne_u32_e32 0, v3
	s_wait_alu 0xfffe
	s_xor_b32 s1, exec_lo, s1
	s_cbranch_execz .LBB0_19
; %bb.18:
	v_mov_b32_e32 v4, 0
	ds_load_b32 v12, v23 offset:8064
	v_lshlrev_b64_e32 v[24:25], 2, v[3:4]
	s_delay_alu instid0(VALU_DEP_1) | instskip(SKIP_1) | instid1(VALU_DEP_2)
	v_add_co_u32 v24, s0, s8, v24
	s_wait_alu 0xf1ff
	v_add_co_ci_u32_e64 v25, s0, s9, v25, s0
	global_load_b32 v4, v[24:25], off offset:8056
	s_wait_dscnt 0x0
	v_pk_add_f16 v14, v6, v12 neg_lo:[0,1] neg_hi:[0,1]
	v_pk_add_f16 v6, v12, v6
	s_delay_alu instid0(VALU_DEP_1) | instskip(SKIP_1) | instid1(VALU_DEP_2)
	v_bfi_b32 v12, 0xffff, v14, v6
	v_bfi_b32 v6, 0xffff, v6, v14
	v_pk_mul_f16 v12, v12, 0.5 op_sel_hi:[1,0]
	s_delay_alu instid0(VALU_DEP_2) | instskip(SKIP_1) | instid1(VALU_DEP_2)
	v_pk_mul_f16 v16, v6, 0.5 op_sel_hi:[1,0]
	s_wait_loadcnt 0x0
	v_pk_mul_f16 v14, v4, v12 op_sel:[1,0]
	v_pk_mul_f16 v18, v4, v12 op_sel_hi:[0,1]
	s_delay_alu instid0(VALU_DEP_2)
	v_pk_fma_f16 v4, v6, 0.5, v14 op_sel_hi:[1,0,1]
	v_lshrrev_b32_e32 v6, 16, v16
	v_lshrrev_b32_e32 v12, 16, v14
	v_sub_f16_e32 v14, v16, v14
	v_lshrrev_b32_e32 v16, 16, v18
	v_pk_add_f16 v20, v4, v18 op_sel:[0,1] op_sel_hi:[1,0]
	v_pk_add_f16 v22, v4, v18 op_sel:[0,1] op_sel_hi:[1,0] neg_lo:[0,1] neg_hi:[0,1]
	v_sub_f16_e32 v6, v12, v6
	s_delay_alu instid0(VALU_DEP_4) | instskip(NEXT) | instid1(VALU_DEP_3)
	v_sub_f16_e32 v4, v14, v16
	v_bfi_b32 v12, 0xffff, v20, v22
	s_delay_alu instid0(VALU_DEP_3)
	v_sub_f16_e32 v24, v6, v18
                                        ; implicit-def: $vgpr6
.LBB0_19:
	s_wait_alu 0xfffe
	s_and_not1_saveexec_b32 s0, s1
	s_cbranch_execz .LBB0_21
; %bb.20:
	ds_load_u16 v12, v0 offset:4034
	s_wait_dscnt 0x1
	s_wait_alu 0xfffe
	v_alignbit_b32 v4, s0, v6, 16
	v_lshrrev_b32_e32 v14, 16, v6
	v_mov_b32_e32 v24, 0
	s_delay_alu instid0(VALU_DEP_3) | instskip(NEXT) | instid1(VALU_DEP_3)
	v_pk_add_f16 v16, v4, v6
	v_sub_f16_e32 v4, v6, v14
	s_wait_dscnt 0x0
	v_xor_b32_e32 v6, 0x8000, v12
	s_delay_alu instid0(VALU_DEP_3)
	v_pack_b32_f16 v12, v16, 0
	ds_store_b16 v0, v6 offset:4034
.LBB0_21:
	s_wait_alu 0xfffe
	s_or_b32 exec_lo, exec_lo, s0
	s_wait_dscnt 0x0
	v_mov_b32_e32 v6, 0
	ds_store_b16 v23, v24 offset:8066
	v_lshlrev_b64_e32 v[25:26], 2, v[5:6]
	v_mov_b32_e32 v22, v6
	v_mov_b32_e32 v20, v6
	;; [unrolled: 1-line block ×5, first 2 shown]
	v_add_co_u32 v25, s0, s8, v25
	s_wait_alu 0xf1ff
	v_add_co_ci_u32_e64 v26, s0, s9, v26, s0
	global_load_b32 v27, v[25:26], off offset:8056
	v_lshlrev_b64_e32 v[25:26], 2, v[21:22]
	s_delay_alu instid0(VALU_DEP_1) | instskip(SKIP_1) | instid1(VALU_DEP_2)
	v_add_co_u32 v25, s0, s8, v25
	s_wait_alu 0xf1ff
	v_add_co_ci_u32_e64 v26, s0, s9, v26, s0
	global_load_b32 v22, v[25:26], off offset:8056
	v_lshlrev_b64_e32 v[25:26], 2, v[19:20]
	v_lshl_add_u32 v19, v19, 2, v0
	s_delay_alu instid0(VALU_DEP_2) | instskip(SKIP_1) | instid1(VALU_DEP_3)
	v_add_co_u32 v25, s0, s8, v25
	s_wait_alu 0xf1ff
	v_add_co_ci_u32_e64 v26, s0, s9, v26, s0
	global_load_b32 v20, v[25:26], off offset:8056
	v_lshlrev_b64_e32 v[25:26], 2, v[17:18]
	s_delay_alu instid0(VALU_DEP_1) | instskip(SKIP_1) | instid1(VALU_DEP_2)
	v_add_co_u32 v25, s0, s8, v25
	s_wait_alu 0xf1ff
	v_add_co_ci_u32_e64 v26, s0, s9, v26, s0
	global_load_b32 v18, v[25:26], off offset:8056
	v_lshlrev_b64_e32 v[25:26], 2, v[15:16]
	v_lshl_add_u32 v15, v15, 2, v0
	s_delay_alu instid0(VALU_DEP_2) | instskip(SKIP_1) | instid1(VALU_DEP_3)
	v_add_co_u32 v25, s0, s8, v25
	s_wait_alu 0xf1ff
	v_add_co_ci_u32_e64 v26, s0, s9, v26, s0
	global_load_b32 v16, v[25:26], off offset:8056
	v_lshlrev_b64_e32 v[24:25], 2, v[13:14]
	ds_store_b32 v10, v12
	ds_store_b16 v23, v4 offset:8064
	ds_load_b32 v14, v36
	ds_load_b32 v26, v23 offset:7616
	v_mov_b32_e32 v12, v6
	v_mov_b32_e32 v10, v6
	v_lshl_add_u32 v13, v13, 2, v0
	v_add_co_u32 v4, s0, s8, v24
	s_wait_alu 0xf1ff
	v_add_co_ci_u32_e64 v5, s0, s9, v25, s0
	v_lshlrev_b64_e32 v[24:25], 2, v[9:10]
	v_lshl_add_u32 v9, v9, 2, v0
	global_load_b32 v28, v[4:5], off offset:8056
	v_lshlrev_b64_e32 v[4:5], 2, v[11:12]
	v_lshl_add_u32 v11, v11, 2, v0
	s_delay_alu instid0(VALU_DEP_2) | instskip(SKIP_1) | instid1(VALU_DEP_3)
	v_add_co_u32 v4, s0, s8, v4
	s_wait_alu 0xf1ff
	v_add_co_ci_u32_e64 v5, s0, s9, v5, s0
	v_add_co_u32 v24, s0, s8, v24
	s_wait_alu 0xf1ff
	v_add_co_ci_u32_e64 v25, s0, s9, v25, s0
	s_wait_dscnt 0x0
	v_pk_add_f16 v10, v14, v26 neg_lo:[0,1] neg_hi:[0,1]
	v_pk_add_f16 v12, v14, v26
	s_clause 0x1
	global_load_b32 v4, v[4:5], off offset:8056
	global_load_b32 v5, v[24:25], off offset:8056
	v_bfi_b32 v14, 0xffff, v10, v12
	v_bfi_b32 v10, 0xffff, v12, v10
	s_delay_alu instid0(VALU_DEP_2) | instskip(NEXT) | instid1(VALU_DEP_2)
	v_pk_mul_f16 v12, v14, 0.5 op_sel_hi:[1,0]
	v_pk_mul_f16 v10, v10, 0.5 op_sel_hi:[1,0]
	s_wait_loadcnt 0x7
	s_delay_alu instid0(VALU_DEP_1) | instskip(SKIP_3) | instid1(VALU_DEP_3)
	v_pk_fma_f16 v14, v27, v12, v10 op_sel:[1,0,0]
	v_pk_mul_f16 v24, v27, v12 op_sel_hi:[0,1]
	v_pk_fma_f16 v25, v27, v12, v10 op_sel:[1,0,0] neg_lo:[1,0,0] neg_hi:[1,0,0]
	v_pk_fma_f16 v10, v27, v12, v10 op_sel:[1,0,0] neg_lo:[0,0,1] neg_hi:[0,0,1]
	v_pk_add_f16 v12, v14, v24 op_sel:[0,1] op_sel_hi:[1,0]
	v_pk_add_f16 v14, v14, v24 op_sel:[0,1] op_sel_hi:[1,0] neg_lo:[0,1] neg_hi:[0,1]
	s_delay_alu instid0(VALU_DEP_4) | instskip(NEXT) | instid1(VALU_DEP_4)
	v_pk_add_f16 v25, v25, v24 op_sel:[0,1] op_sel_hi:[1,0] neg_lo:[0,1] neg_hi:[0,1]
	v_pk_add_f16 v10, v10, v24 op_sel:[0,1] op_sel_hi:[1,0] neg_lo:[0,1] neg_hi:[0,1]
	s_delay_alu instid0(VALU_DEP_3) | instskip(SKIP_1) | instid1(VALU_DEP_3)
	v_bfi_b32 v12, 0xffff, v12, v14
	v_lshl_add_u32 v14, v21, 2, v0
	v_bfi_b32 v10, 0xffff, v25, v10
	ds_store_b32 v36, v12
	ds_store_b32 v23, v10 offset:7616
	ds_load_b32 v10, v14
	ds_load_b32 v12, v23 offset:7168
	s_wait_dscnt 0x0
	v_pk_add_f16 v21, v10, v12 neg_lo:[0,1] neg_hi:[0,1]
	v_pk_add_f16 v10, v10, v12
	s_delay_alu instid0(VALU_DEP_1) | instskip(SKIP_1) | instid1(VALU_DEP_2)
	v_bfi_b32 v12, 0xffff, v21, v10
	v_bfi_b32 v10, 0xffff, v10, v21
	v_pk_mul_f16 v12, v12, 0.5 op_sel_hi:[1,0]
	s_delay_alu instid0(VALU_DEP_2) | instskip(SKIP_1) | instid1(VALU_DEP_2)
	v_pk_mul_f16 v10, v10, 0.5 op_sel_hi:[1,0]
	s_wait_loadcnt 0x6
	v_pk_mul_f16 v24, v22, v12 op_sel_hi:[0,1]
	s_delay_alu instid0(VALU_DEP_2) | instskip(SKIP_2) | instid1(VALU_DEP_3)
	v_pk_fma_f16 v21, v22, v12, v10 op_sel:[1,0,0]
	v_pk_fma_f16 v25, v22, v12, v10 op_sel:[1,0,0] neg_lo:[1,0,0] neg_hi:[1,0,0]
	v_pk_fma_f16 v10, v22, v12, v10 op_sel:[1,0,0] neg_lo:[0,0,1] neg_hi:[0,0,1]
	v_pk_add_f16 v12, v21, v24 op_sel:[0,1] op_sel_hi:[1,0]
	v_pk_add_f16 v21, v21, v24 op_sel:[0,1] op_sel_hi:[1,0] neg_lo:[0,1] neg_hi:[0,1]
	s_delay_alu instid0(VALU_DEP_4) | instskip(NEXT) | instid1(VALU_DEP_4)
	v_pk_add_f16 v22, v25, v24 op_sel:[0,1] op_sel_hi:[1,0] neg_lo:[0,1] neg_hi:[0,1]
	v_pk_add_f16 v10, v10, v24 op_sel:[0,1] op_sel_hi:[1,0] neg_lo:[0,1] neg_hi:[0,1]
	s_delay_alu instid0(VALU_DEP_3) | instskip(NEXT) | instid1(VALU_DEP_2)
	v_bfi_b32 v12, 0xffff, v12, v21
	v_bfi_b32 v10, 0xffff, v22, v10
	ds_store_b32 v14, v12
	ds_store_b32 v23, v10 offset:7168
	ds_load_b32 v10, v19
	ds_load_b32 v12, v23 offset:6720
	s_wait_dscnt 0x0
	v_pk_add_f16 v14, v10, v12 neg_lo:[0,1] neg_hi:[0,1]
	v_pk_add_f16 v10, v10, v12
	s_delay_alu instid0(VALU_DEP_1) | instskip(SKIP_1) | instid1(VALU_DEP_2)
	v_bfi_b32 v12, 0xffff, v14, v10
	v_bfi_b32 v10, 0xffff, v10, v14
	v_pk_mul_f16 v12, v12, 0.5 op_sel_hi:[1,0]
	s_delay_alu instid0(VALU_DEP_2) | instskip(SKIP_1) | instid1(VALU_DEP_2)
	v_pk_mul_f16 v10, v10, 0.5 op_sel_hi:[1,0]
	s_wait_loadcnt 0x5
	v_pk_mul_f16 v21, v20, v12 op_sel_hi:[0,1]
	s_delay_alu instid0(VALU_DEP_2) | instskip(SKIP_2) | instid1(VALU_DEP_3)
	v_pk_fma_f16 v14, v20, v12, v10 op_sel:[1,0,0]
	v_pk_fma_f16 v22, v20, v12, v10 op_sel:[1,0,0] neg_lo:[1,0,0] neg_hi:[1,0,0]
	v_pk_fma_f16 v10, v20, v12, v10 op_sel:[1,0,0] neg_lo:[0,0,1] neg_hi:[0,0,1]
	v_pk_add_f16 v12, v14, v21 op_sel:[0,1] op_sel_hi:[1,0]
	v_pk_add_f16 v14, v14, v21 op_sel:[0,1] op_sel_hi:[1,0] neg_lo:[0,1] neg_hi:[0,1]
	s_delay_alu instid0(VALU_DEP_4) | instskip(NEXT) | instid1(VALU_DEP_4)
	v_pk_add_f16 v20, v22, v21 op_sel:[0,1] op_sel_hi:[1,0] neg_lo:[0,1] neg_hi:[0,1]
	v_pk_add_f16 v10, v10, v21 op_sel:[0,1] op_sel_hi:[1,0] neg_lo:[0,1] neg_hi:[0,1]
	s_delay_alu instid0(VALU_DEP_3) | instskip(SKIP_1) | instid1(VALU_DEP_3)
	v_bfi_b32 v12, 0xffff, v12, v14
	v_lshl_add_u32 v14, v17, 2, v0
	v_bfi_b32 v10, 0xffff, v20, v10
	ds_store_b32 v19, v12
	ds_store_b32 v23, v10 offset:6720
	ds_load_b32 v10, v14
	ds_load_b32 v12, v23 offset:6272
	s_wait_dscnt 0x0
	v_pk_add_f16 v17, v10, v12 neg_lo:[0,1] neg_hi:[0,1]
	v_pk_add_f16 v10, v10, v12
	s_delay_alu instid0(VALU_DEP_1) | instskip(SKIP_1) | instid1(VALU_DEP_2)
	v_bfi_b32 v12, 0xffff, v17, v10
	v_bfi_b32 v10, 0xffff, v10, v17
	v_pk_mul_f16 v12, v12, 0.5 op_sel_hi:[1,0]
	s_delay_alu instid0(VALU_DEP_2) | instskip(SKIP_1) | instid1(VALU_DEP_2)
	v_pk_mul_f16 v10, v10, 0.5 op_sel_hi:[1,0]
	s_wait_loadcnt 0x4
	v_pk_mul_f16 v19, v18, v12 op_sel_hi:[0,1]
	s_delay_alu instid0(VALU_DEP_2) | instskip(SKIP_2) | instid1(VALU_DEP_3)
	v_pk_fma_f16 v17, v18, v12, v10 op_sel:[1,0,0]
	v_pk_fma_f16 v20, v18, v12, v10 op_sel:[1,0,0] neg_lo:[1,0,0] neg_hi:[1,0,0]
	v_pk_fma_f16 v10, v18, v12, v10 op_sel:[1,0,0] neg_lo:[0,0,1] neg_hi:[0,0,1]
	v_pk_add_f16 v12, v17, v19 op_sel:[0,1] op_sel_hi:[1,0]
	v_pk_add_f16 v17, v17, v19 op_sel:[0,1] op_sel_hi:[1,0] neg_lo:[0,1] neg_hi:[0,1]
	s_delay_alu instid0(VALU_DEP_4) | instskip(NEXT) | instid1(VALU_DEP_4)
	v_pk_add_f16 v18, v20, v19 op_sel:[0,1] op_sel_hi:[1,0] neg_lo:[0,1] neg_hi:[0,1]
	v_pk_add_f16 v10, v10, v19 op_sel:[0,1] op_sel_hi:[1,0] neg_lo:[0,1] neg_hi:[0,1]
	s_delay_alu instid0(VALU_DEP_3) | instskip(NEXT) | instid1(VALU_DEP_2)
	v_bfi_b32 v12, 0xffff, v12, v17
	v_bfi_b32 v10, 0xffff, v18, v10
	ds_store_b32 v14, v12
	ds_store_b32 v23, v10 offset:6272
	ds_load_b32 v10, v15
	ds_load_b32 v12, v23 offset:5824
	s_wait_dscnt 0x0
	v_pk_add_f16 v14, v10, v12 neg_lo:[0,1] neg_hi:[0,1]
	v_pk_add_f16 v10, v10, v12
	s_delay_alu instid0(VALU_DEP_1) | instskip(SKIP_1) | instid1(VALU_DEP_2)
	v_bfi_b32 v12, 0xffff, v14, v10
	v_bfi_b32 v10, 0xffff, v10, v14
	v_pk_mul_f16 v12, v12, 0.5 op_sel_hi:[1,0]
	s_delay_alu instid0(VALU_DEP_2) | instskip(SKIP_1) | instid1(VALU_DEP_2)
	v_pk_mul_f16 v10, v10, 0.5 op_sel_hi:[1,0]
	s_wait_loadcnt 0x3
	v_pk_mul_f16 v17, v16, v12 op_sel_hi:[0,1]
	s_delay_alu instid0(VALU_DEP_2) | instskip(SKIP_2) | instid1(VALU_DEP_3)
	v_pk_fma_f16 v14, v16, v12, v10 op_sel:[1,0,0]
	v_pk_fma_f16 v18, v16, v12, v10 op_sel:[1,0,0] neg_lo:[1,0,0] neg_hi:[1,0,0]
	v_pk_fma_f16 v10, v16, v12, v10 op_sel:[1,0,0] neg_lo:[0,0,1] neg_hi:[0,0,1]
	v_pk_add_f16 v12, v14, v17 op_sel:[0,1] op_sel_hi:[1,0]
	v_pk_add_f16 v14, v14, v17 op_sel:[0,1] op_sel_hi:[1,0] neg_lo:[0,1] neg_hi:[0,1]
	s_delay_alu instid0(VALU_DEP_4) | instskip(NEXT) | instid1(VALU_DEP_4)
	v_pk_add_f16 v16, v18, v17 op_sel:[0,1] op_sel_hi:[1,0] neg_lo:[0,1] neg_hi:[0,1]
	v_pk_add_f16 v10, v10, v17 op_sel:[0,1] op_sel_hi:[1,0] neg_lo:[0,1] neg_hi:[0,1]
	s_delay_alu instid0(VALU_DEP_3) | instskip(NEXT) | instid1(VALU_DEP_2)
	v_bfi_b32 v12, 0xffff, v12, v14
	;; [unrolled: 27-line block ×5, first 2 shown]
	v_bfi_b32 v4, 0xffff, v11, v4
	ds_store_b32 v9, v5
	ds_store_b32 v23, v4 offset:4480
	global_wb scope:SCOPE_SE
	s_wait_dscnt 0x0
	s_barrier_signal -1
	s_barrier_wait -1
	global_inv scope:SCOPE_SE
	s_and_saveexec_b32 s0, vcc_lo
	s_cbranch_execz .LBB0_24
; %bb.22:
	v_mul_lo_u32 v4, s3, v7
	v_mul_lo_u32 v5, s2, v8
	v_mad_co_u64_u32 v[8:9], null, s2, v7, 0
	v_lshl_add_u32 v7, v3, 2, v0
	v_lshlrev_b64_e32 v[0:1], 2, v[1:2]
	s_delay_alu instid0(VALU_DEP_2) | instskip(NEXT) | instid1(VALU_DEP_4)
	v_add_nc_u32_e32 v2, 0x200, v7
	v_add3_u32 v9, v9, v5, v4
	v_dual_mov_b32 v4, v6 :: v_dual_add_nc_u32 v5, 0x70, v3
	ds_load_2addr_b32 v[10:11], v7 offset1:112
	v_lshlrev_b64_e32 v[8:9], 2, v[8:9]
	v_lshlrev_b64_e32 v[12:13], 2, v[3:4]
	;; [unrolled: 1-line block ×3, first 2 shown]
	v_add_nc_u32_e32 v5, 0xe0, v3
	s_delay_alu instid0(VALU_DEP_4) | instskip(SKIP_2) | instid1(VALU_DEP_3)
	v_add_co_u32 v4, vcc_lo, s6, v8
	s_wait_alu 0xfffd
	v_add_co_ci_u32_e32 v16, vcc_lo, s7, v9, vcc_lo
	v_lshlrev_b64_e32 v[8:9], 2, v[5:6]
	v_add_nc_u32_e32 v5, 0x150, v3
	v_add_co_u32 v0, vcc_lo, v4, v0
	s_wait_alu 0xfffd
	v_add_co_ci_u32_e32 v1, vcc_lo, v16, v1, vcc_lo
	s_delay_alu instid0(VALU_DEP_3)
	v_lshlrev_b64_e32 v[18:19], 2, v[5:6]
	v_add_nc_u32_e32 v5, 0x1c0, v3
	ds_load_2addr_b32 v[16:17], v2 offset0:96 offset1:208
	v_add_nc_u32_e32 v2, 0x600, v7
	v_add_co_u32 v12, vcc_lo, v0, v12
	v_lshlrev_b64_e32 v[20:21], 2, v[5:6]
	v_add_nc_u32_e32 v5, 0x230, v3
	s_wait_alu 0xfffd
	v_add_co_ci_u32_e32 v13, vcc_lo, v1, v13, vcc_lo
	v_add_co_u32 v14, vcc_lo, v0, v14
	s_delay_alu instid0(VALU_DEP_3)
	v_lshlrev_b64_e32 v[24:25], 2, v[5:6]
	v_add_nc_u32_e32 v5, 0x2a0, v3
	ds_load_2addr_b32 v[22:23], v2 offset0:64 offset1:176
	v_add_nc_u32_e32 v2, 0xa00, v7
	s_wait_alu 0xfffd
	v_add_co_ci_u32_e32 v15, vcc_lo, v1, v15, vcc_lo
	v_add_co_u32 v8, vcc_lo, v0, v8
	s_wait_alu 0xfffd
	v_add_co_ci_u32_e32 v9, vcc_lo, v1, v9, vcc_lo
	v_lshlrev_b64_e32 v[26:27], 2, v[5:6]
	v_add_nc_u32_e32 v5, 0x310, v3
	v_add_co_u32 v18, vcc_lo, v0, v18
	ds_load_2addr_b32 v[28:29], v2 offset0:32 offset1:144
	s_wait_alu 0xfffd
	v_add_co_ci_u32_e32 v19, vcc_lo, v1, v19, vcc_lo
	v_add_co_u32 v20, vcc_lo, v0, v20
	v_lshlrev_b64_e32 v[30:31], 2, v[5:6]
	v_add_nc_u32_e32 v5, 0x380, v3
	s_wait_alu 0xfffd
	v_add_co_ci_u32_e32 v21, vcc_lo, v1, v21, vcc_lo
	v_add_co_u32 v24, vcc_lo, v0, v24
	s_wait_alu 0xfffd
	v_add_co_ci_u32_e32 v25, vcc_lo, v1, v25, vcc_lo
	v_add_co_u32 v26, vcc_lo, v0, v26
	v_lshlrev_b64_e32 v[32:33], 2, v[5:6]
	v_add_nc_u32_e32 v5, 0x3f0, v3
	s_wait_alu 0xfffd
	v_add_co_ci_u32_e32 v27, vcc_lo, v1, v27, vcc_lo
	v_add_co_u32 v30, vcc_lo, v0, v30
	s_wait_alu 0xfffd
	v_add_co_ci_u32_e32 v31, vcc_lo, v1, v31, vcc_lo
	s_wait_dscnt 0x3
	s_clause 0x1
	global_store_b32 v[12:13], v10, off
	global_store_b32 v[14:15], v11, off
	s_wait_dscnt 0x2
	s_clause 0x1
	global_store_b32 v[8:9], v16, off
	global_store_b32 v[18:19], v17, off
	;; [unrolled: 4-line block ×4, first 2 shown]
	v_lshlrev_b64_e32 v[10:11], 2, v[5:6]
	v_add_nc_u32_e32 v5, 0x460, v3
	v_add_nc_u32_e32 v2, 0xc00, v7
	v_add_co_u32 v12, vcc_lo, v0, v32
	s_wait_alu 0xfffd
	v_add_co_ci_u32_e32 v13, vcc_lo, v1, v33, vcc_lo
	v_lshlrev_b64_e32 v[14:15], 2, v[5:6]
	v_add_nc_u32_e32 v5, 0x4d0, v3
	ds_load_2addr_b32 v[8:9], v2 offset0:128 offset1:240
	v_add_nc_u32_e32 v2, 0x1000, v7
	v_add_co_u32 v10, vcc_lo, v0, v10
	v_lshlrev_b64_e32 v[18:19], 2, v[5:6]
	v_add_nc_u32_e32 v5, 0x540, v3
	s_wait_alu 0xfffd
	v_add_co_ci_u32_e32 v11, vcc_lo, v1, v11, vcc_lo
	v_add_co_u32 v14, vcc_lo, v0, v14
	s_delay_alu instid0(VALU_DEP_3)
	v_lshlrev_b64_e32 v[20:21], 2, v[5:6]
	v_add_nc_u32_e32 v5, 0x5b0, v3
	ds_load_2addr_b32 v[16:17], v2 offset0:96 offset1:208
	s_wait_alu 0xfffd
	v_add_co_ci_u32_e32 v15, vcc_lo, v1, v15, vcc_lo
	v_add_nc_u32_e32 v2, 0x1400, v7
	v_lshlrev_b64_e32 v[24:25], 2, v[5:6]
	v_add_nc_u32_e32 v5, 0x620, v3
	v_add_co_u32 v18, vcc_lo, v0, v18
	s_wait_alu 0xfffd
	v_add_co_ci_u32_e32 v19, vcc_lo, v1, v19, vcc_lo
	s_delay_alu instid0(VALU_DEP_3)
	v_lshlrev_b64_e32 v[26:27], 2, v[5:6]
	v_add_nc_u32_e32 v5, 0x690, v3
	v_add_co_u32 v20, vcc_lo, v0, v20
	ds_load_2addr_b32 v[22:23], v2 offset0:64 offset1:176
	v_add_nc_u32_e32 v2, 0x1800, v7
	v_lshlrev_b64_e32 v[30:31], 2, v[5:6]
	v_add_nc_u32_e32 v5, 0x700, v3
	s_wait_alu 0xfffd
	v_add_co_ci_u32_e32 v21, vcc_lo, v1, v21, vcc_lo
	v_add_co_u32 v24, vcc_lo, v0, v24
	s_delay_alu instid0(VALU_DEP_3)
	v_lshlrev_b64_e32 v[34:35], 2, v[5:6]
	v_add_nc_u32_e32 v5, 0x770, v3
	s_wait_alu 0xfffd
	v_add_co_ci_u32_e32 v25, vcc_lo, v1, v25, vcc_lo
	ds_load_2addr_b32 v[28:29], v2 offset0:32 offset1:144
	v_add_nc_u32_e32 v2, 0x1c00, v7
	v_add_co_u32 v26, vcc_lo, v0, v26
	s_wait_alu 0xfffd
	v_add_co_ci_u32_e32 v27, vcc_lo, v1, v27, vcc_lo
	v_add_co_u32 v30, vcc_lo, v0, v30
	v_lshlrev_b64_e32 v[4:5], 2, v[5:6]
	ds_load_2addr_b32 v[32:33], v2 offset1:112
	s_wait_alu 0xfffd
	v_add_co_ci_u32_e32 v31, vcc_lo, v1, v31, vcc_lo
	v_add_co_u32 v34, vcc_lo, v0, v34
	s_wait_alu 0xfffd
	v_add_co_ci_u32_e32 v35, vcc_lo, v1, v35, vcc_lo
	v_add_co_u32 v4, vcc_lo, v0, v4
	s_wait_alu 0xfffd
	v_add_co_ci_u32_e32 v5, vcc_lo, v1, v5, vcc_lo
	v_cmp_eq_u32_e32 vcc_lo, 0x6f, v3
	s_wait_dscnt 0x4
	s_clause 0x1
	global_store_b32 v[12:13], v8, off
	global_store_b32 v[10:11], v9, off
	s_wait_dscnt 0x3
	s_clause 0x1
	global_store_b32 v[14:15], v16, off
	global_store_b32 v[18:19], v17, off
	;; [unrolled: 4-line block ×5, first 2 shown]
	s_and_b32 exec_lo, exec_lo, vcc_lo
	s_cbranch_execz .LBB0_24
; %bb.23:
	ds_load_b32 v2, v7 offset:7620
	s_wait_dscnt 0x0
	global_store_b32 v[0:1], v2, off offset:8064
.LBB0_24:
	s_nop 0
	s_sendmsg sendmsg(MSG_DEALLOC_VGPRS)
	s_endpgm
	.section	.rodata,"a",@progbits
	.p2align	6, 0x0
	.amdhsa_kernel fft_rtc_fwd_len2016_factors_2_2_2_2_2_3_3_7_wgs_224_tpt_112_halfLds_half_op_CI_CI_unitstride_sbrr_R2C_dirReg
		.amdhsa_group_segment_fixed_size 0
		.amdhsa_private_segment_fixed_size 0
		.amdhsa_kernarg_size 104
		.amdhsa_user_sgpr_count 2
		.amdhsa_user_sgpr_dispatch_ptr 0
		.amdhsa_user_sgpr_queue_ptr 0
		.amdhsa_user_sgpr_kernarg_segment_ptr 1
		.amdhsa_user_sgpr_dispatch_id 0
		.amdhsa_user_sgpr_private_segment_size 0
		.amdhsa_wavefront_size32 1
		.amdhsa_uses_dynamic_stack 0
		.amdhsa_enable_private_segment 0
		.amdhsa_system_sgpr_workgroup_id_x 1
		.amdhsa_system_sgpr_workgroup_id_y 0
		.amdhsa_system_sgpr_workgroup_id_z 0
		.amdhsa_system_sgpr_workgroup_info 0
		.amdhsa_system_vgpr_workitem_id 0
		.amdhsa_next_free_vgpr 90
		.amdhsa_next_free_sgpr 39
		.amdhsa_reserve_vcc 1
		.amdhsa_float_round_mode_32 0
		.amdhsa_float_round_mode_16_64 0
		.amdhsa_float_denorm_mode_32 3
		.amdhsa_float_denorm_mode_16_64 3
		.amdhsa_fp16_overflow 0
		.amdhsa_workgroup_processor_mode 1
		.amdhsa_memory_ordered 1
		.amdhsa_forward_progress 0
		.amdhsa_round_robin_scheduling 0
		.amdhsa_exception_fp_ieee_invalid_op 0
		.amdhsa_exception_fp_denorm_src 0
		.amdhsa_exception_fp_ieee_div_zero 0
		.amdhsa_exception_fp_ieee_overflow 0
		.amdhsa_exception_fp_ieee_underflow 0
		.amdhsa_exception_fp_ieee_inexact 0
		.amdhsa_exception_int_div_zero 0
	.end_amdhsa_kernel
	.text
.Lfunc_end0:
	.size	fft_rtc_fwd_len2016_factors_2_2_2_2_2_3_3_7_wgs_224_tpt_112_halfLds_half_op_CI_CI_unitstride_sbrr_R2C_dirReg, .Lfunc_end0-fft_rtc_fwd_len2016_factors_2_2_2_2_2_3_3_7_wgs_224_tpt_112_halfLds_half_op_CI_CI_unitstride_sbrr_R2C_dirReg
                                        ; -- End function
	.section	.AMDGPU.csdata,"",@progbits
; Kernel info:
; codeLenInByte = 15968
; NumSgprs: 41
; NumVgprs: 90
; ScratchSize: 0
; MemoryBound: 0
; FloatMode: 240
; IeeeMode: 1
; LDSByteSize: 0 bytes/workgroup (compile time only)
; SGPRBlocks: 5
; VGPRBlocks: 11
; NumSGPRsForWavesPerEU: 41
; NumVGPRsForWavesPerEU: 90
; Occupancy: 16
; WaveLimiterHint : 1
; COMPUTE_PGM_RSRC2:SCRATCH_EN: 0
; COMPUTE_PGM_RSRC2:USER_SGPR: 2
; COMPUTE_PGM_RSRC2:TRAP_HANDLER: 0
; COMPUTE_PGM_RSRC2:TGID_X_EN: 1
; COMPUTE_PGM_RSRC2:TGID_Y_EN: 0
; COMPUTE_PGM_RSRC2:TGID_Z_EN: 0
; COMPUTE_PGM_RSRC2:TIDIG_COMP_CNT: 0
	.text
	.p2alignl 7, 3214868480
	.fill 96, 4, 3214868480
	.type	__hip_cuid_187eace11ff1224b,@object ; @__hip_cuid_187eace11ff1224b
	.section	.bss,"aw",@nobits
	.globl	__hip_cuid_187eace11ff1224b
__hip_cuid_187eace11ff1224b:
	.byte	0                               ; 0x0
	.size	__hip_cuid_187eace11ff1224b, 1

	.ident	"AMD clang version 19.0.0git (https://github.com/RadeonOpenCompute/llvm-project roc-6.4.0 25133 c7fe45cf4b819c5991fe208aaa96edf142730f1d)"
	.section	".note.GNU-stack","",@progbits
	.addrsig
	.addrsig_sym __hip_cuid_187eace11ff1224b
	.amdgpu_metadata
---
amdhsa.kernels:
  - .args:
      - .actual_access:  read_only
        .address_space:  global
        .offset:         0
        .size:           8
        .value_kind:     global_buffer
      - .offset:         8
        .size:           8
        .value_kind:     by_value
      - .actual_access:  read_only
        .address_space:  global
        .offset:         16
        .size:           8
        .value_kind:     global_buffer
      - .actual_access:  read_only
        .address_space:  global
        .offset:         24
        .size:           8
        .value_kind:     global_buffer
      - .actual_access:  read_only
        .address_space:  global
        .offset:         32
        .size:           8
        .value_kind:     global_buffer
      - .offset:         40
        .size:           8
        .value_kind:     by_value
      - .actual_access:  read_only
        .address_space:  global
        .offset:         48
        .size:           8
        .value_kind:     global_buffer
      - .actual_access:  read_only
        .address_space:  global
        .offset:         56
        .size:           8
        .value_kind:     global_buffer
      - .offset:         64
        .size:           4
        .value_kind:     by_value
      - .actual_access:  read_only
        .address_space:  global
        .offset:         72
        .size:           8
        .value_kind:     global_buffer
      - .actual_access:  read_only
        .address_space:  global
        .offset:         80
        .size:           8
        .value_kind:     global_buffer
      - .actual_access:  read_only
        .address_space:  global
        .offset:         88
        .size:           8
        .value_kind:     global_buffer
      - .actual_access:  write_only
        .address_space:  global
        .offset:         96
        .size:           8
        .value_kind:     global_buffer
    .group_segment_fixed_size: 0
    .kernarg_segment_align: 8
    .kernarg_segment_size: 104
    .language:       OpenCL C
    .language_version:
      - 2
      - 0
    .max_flat_workgroup_size: 224
    .name:           fft_rtc_fwd_len2016_factors_2_2_2_2_2_3_3_7_wgs_224_tpt_112_halfLds_half_op_CI_CI_unitstride_sbrr_R2C_dirReg
    .private_segment_fixed_size: 0
    .sgpr_count:     41
    .sgpr_spill_count: 0
    .symbol:         fft_rtc_fwd_len2016_factors_2_2_2_2_2_3_3_7_wgs_224_tpt_112_halfLds_half_op_CI_CI_unitstride_sbrr_R2C_dirReg.kd
    .uniform_work_group_size: 1
    .uses_dynamic_stack: false
    .vgpr_count:     90
    .vgpr_spill_count: 0
    .wavefront_size: 32
    .workgroup_processor_mode: 1
amdhsa.target:   amdgcn-amd-amdhsa--gfx1201
amdhsa.version:
  - 1
  - 2
...

	.end_amdgpu_metadata
